;; amdgpu-corpus repo=ROCm/rocFFT kind=compiled arch=gfx1030 opt=O3
	.text
	.amdgcn_target "amdgcn-amd-amdhsa--gfx1030"
	.amdhsa_code_object_version 6
	.protected	bluestein_single_fwd_len182_dim1_sp_op_CI_CI ; -- Begin function bluestein_single_fwd_len182_dim1_sp_op_CI_CI
	.globl	bluestein_single_fwd_len182_dim1_sp_op_CI_CI
	.p2align	8
	.type	bluestein_single_fwd_len182_dim1_sp_op_CI_CI,@function
bluestein_single_fwd_len182_dim1_sp_op_CI_CI: ; @bluestein_single_fwd_len182_dim1_sp_op_CI_CI
; %bb.0:
	s_load_dwordx4 s[12:15], s[4:5], 0x28
	v_mul_u32_u24_e32 v1, 0x13b2, v0
	v_mov_b32_e32 v83, 0
	s_mov_b32 s0, exec_lo
	v_lshrrev_b32_e32 v2, 16, v1
	v_lshl_add_u32 v82, s6, 2, v2
	s_waitcnt lgkmcnt(0)
	v_cmpx_gt_u64_e64 s[12:13], v[82:83]
	s_cbranch_execz .LBB0_15
; %bb.1:
	s_clause 0x1
	s_load_dwordx4 s[8:11], s[4:5], 0x18
	s_load_dwordx2 s[6:7], s[4:5], 0x0
	v_mul_lo_u16 v1, v2, 13
	v_sub_nc_u16 v33, v0, v1
	v_and_b32_e32 v117, 0xffff, v33
	v_or_b32_e32 v116, 0x70, v117
	v_lshlrev_b32_e32 v113, 3, v117
	s_waitcnt lgkmcnt(0)
	s_load_dwordx4 s[0:3], s[8:9], 0x0
	s_clause 0x1
	global_load_dwordx2 v[97:98], v113, s[6:7]
	global_load_dwordx2 v[72:73], v113, s[6:7] offset:896
	s_waitcnt lgkmcnt(0)
	v_mad_u64_u32 v[0:1], null, s2, v82, 0
	v_mad_u64_u32 v[3:4], null, s0, v117, 0
	s_mul_i32 s2, s1, 0x70
	s_mul_i32 s8, s0, 0x70
	v_mad_u64_u32 v[5:6], null, s3, v82, v[1:2]
	s_mul_hi_u32 s3, s0, 0x70
	v_and_b32_e32 v2, 3, v2
	s_add_i32 s3, s3, s2
	v_mul_u32_u24_e32 v114, 0xb6, v2
	v_mad_u64_u32 v[6:7], null, s1, v117, v[4:5]
	v_mov_b32_e32 v1, v5
	v_lshlrev_b32_e32 v115, 3, v114
	v_lshlrev_b64 v[0:1], 3, v[0:1]
	v_mov_b32_e32 v4, v6
	v_mad_u64_u32 v[5:6], null, s0, v116, 0
	v_add_nc_u32_e32 v118, v115, v113
	v_lshlrev_b64 v[3:4], 3, v[3:4]
	v_add_co_u32 v0, vcc_lo, s14, v0
	v_add_co_ci_u32_e32 v1, vcc_lo, s15, v1, vcc_lo
	v_mad_u64_u32 v[6:7], null, s1, v116, v[6:7]
	v_add_co_u32 v3, vcc_lo, v0, v3
	v_add_co_ci_u32_e32 v4, vcc_lo, v1, v4, vcc_lo
	v_add_co_u32 v7, vcc_lo, v3, s8
	v_add_co_ci_u32_e32 v8, vcc_lo, s3, v4, vcc_lo
	v_lshlrev_b64 v[5:6], 3, v[5:6]
	v_add_co_u32 v9, vcc_lo, v7, s8
	v_add_co_ci_u32_e32 v10, vcc_lo, s3, v8, vcc_lo
	global_load_dwordx2 v[3:4], v[3:4], off
	v_add_co_u32 v11, vcc_lo, v9, s8
	v_add_co_ci_u32_e32 v12, vcc_lo, s3, v10, vcc_lo
	v_add_co_u32 v13, vcc_lo, v11, s8
	v_add_co_ci_u32_e32 v14, vcc_lo, s3, v12, vcc_lo
	;; [unrolled: 2-line block ×4, first 2 shown]
	global_load_dwordx2 v[5:6], v[5:6], off
	v_add_co_u32 v17, vcc_lo, v15, s8
	v_add_co_ci_u32_e32 v18, vcc_lo, s3, v16, vcc_lo
	global_load_dwordx2 v[95:96], v113, s[6:7] offset:112
	global_load_dwordx2 v[7:8], v[7:8], off
	v_add_co_u32 v19, vcc_lo, v17, s8
	v_add_co_ci_u32_e32 v20, vcc_lo, s3, v18, vcc_lo
	global_load_dwordx2 v[9:10], v[9:10], off
	s_clause 0x1
	global_load_dwordx2 v[93:94], v113, s[6:7] offset:224
	global_load_dwordx2 v[91:92], v113, s[6:7] offset:336
	s_clause 0x1
	global_load_dwordx2 v[11:12], v[11:12], off
	global_load_dwordx2 v[13:14], v[13:14], off
	;; [unrolled: 1-line block ×3, first 2 shown]
	global_load_dwordx2 v[89:90], v113, s[6:7] offset:448
	v_mad_u64_u32 v[21:22], null, 0xe0, s0, v[19:20]
	s_clause 0x4
	global_load_dwordx2 v[87:88], v113, s[6:7] offset:560
	global_load_dwordx2 v[85:86], v113, s[6:7] offset:672
	global_load_dwordx2 v[83:84], v113, s[6:7] offset:784
	global_load_dwordx2 v[76:77], v113, s[6:7] offset:1008
	global_load_dwordx2 v[74:75], v113, s[6:7] offset:1120
	global_load_dwordx2 v[17:18], v[17:18], off
	global_load_dwordx2 v[19:20], v[19:20], off
	v_mad_u64_u32 v[22:23], null, 0xe0, s1, v[22:23]
	v_add_co_u32 v23, vcc_lo, v21, s8
	v_add_co_ci_u32_e32 v24, vcc_lo, s3, v22, vcc_lo
	v_add_co_u32 v25, vcc_lo, v23, s8
	global_load_dwordx2 v[21:22], v[21:22], off
	v_add_co_ci_u32_e32 v26, vcc_lo, s3, v24, vcc_lo
	v_add_co_u32 v27, vcc_lo, v25, s8
	global_load_dwordx2 v[23:24], v[23:24], off
	v_add_co_ci_u32_e32 v28, vcc_lo, s3, v26, vcc_lo
	global_load_dwordx2 v[78:79], v113, s[6:7] offset:1232
	global_load_dwordx2 v[25:26], v[25:26], off
	global_load_dwordx2 v[80:81], v113, s[6:7] offset:1344
	global_load_dwordx2 v[27:28], v[27:28], off
	s_load_dwordx2 s[2:3], s[4:5], 0x38
	s_load_dwordx4 s[8:11], s[10:11], 0x0
	v_cmp_eq_u16_e32 vcc_lo, 0, v33
	s_waitcnt vmcnt(23)
	v_mul_f32_e32 v2, v4, v98
	v_mul_f32_e32 v30, v3, v98
	v_fmac_f32_e32 v2, v3, v97
	v_fma_f32 v3, v4, v97, -v30
	s_waitcnt vmcnt(22)
	v_mul_f32_e32 v31, v5, v73
	v_mul_f32_e32 v29, v6, v73
	s_waitcnt vmcnt(20)
	v_mul_f32_e32 v4, v8, v96
	v_mul_f32_e32 v32, v7, v96
	v_fma_f32 v30, v6, v72, -v31
	s_waitcnt vmcnt(18)
	v_mul_f32_e32 v6, v10, v94
	v_mul_f32_e32 v34, v9, v94
	s_waitcnt vmcnt(16)
	v_mul_f32_e32 v31, v12, v92
	v_fmac_f32_e32 v29, v5, v72
	v_fmac_f32_e32 v4, v7, v95
	v_fma_f32 v5, v8, v95, -v32
	v_fmac_f32_e32 v6, v9, v93
	v_mul_f32_e32 v9, v11, v92
	v_fma_f32 v7, v10, v93, -v34
	v_fmac_f32_e32 v31, v11, v91
	s_waitcnt vmcnt(13)
	v_mul_f32_e32 v8, v14, v90
	v_mul_f32_e32 v11, v13, v90
	s_waitcnt vmcnt(12)
	v_mul_f32_e32 v10, v16, v88
	v_mul_f32_e32 v34, v15, v88
	ds_write2_b64 v118, v[2:3], v[4:5] offset1:14
	s_waitcnt vmcnt(7)
	v_mul_f32_e32 v3, v17, v86
	v_fma_f32 v32, v12, v91, -v9
	v_fmac_f32_e32 v8, v13, v89
	v_fma_f32 v9, v14, v89, -v11
	v_fmac_f32_e32 v10, v15, v87
	v_fma_f32 v11, v16, v87, -v34
	v_mul_f32_e32 v12, v18, v86
	s_waitcnt vmcnt(6)
	v_mul_f32_e32 v2, v20, v84
	v_fma_f32 v13, v18, v85, -v3
	v_mul_f32_e32 v3, v19, v84
	s_waitcnt vmcnt(5)
	v_mul_f32_e32 v4, v22, v77
	v_mul_f32_e32 v5, v21, v77
	ds_write2_b64 v118, v[6:7], v[31:32] offset0:28 offset1:42
	ds_write2_b64 v118, v[8:9], v[10:11] offset0:56 offset1:70
	v_fmac_f32_e32 v12, v17, v85
	v_fmac_f32_e32 v2, v19, v83
	s_waitcnt vmcnt(4)
	v_mul_f32_e32 v6, v24, v75
	v_mul_f32_e32 v7, v23, v75
	s_waitcnt vmcnt(2)
	v_mul_f32_e32 v8, v26, v79
	v_mul_f32_e32 v9, v25, v79
	;; [unrolled: 3-line block ×3, first 2 shown]
	v_fma_f32 v3, v20, v83, -v3
	v_fmac_f32_e32 v4, v21, v76
	v_fma_f32 v5, v22, v76, -v5
	v_fmac_f32_e32 v6, v23, v74
	;; [unrolled: 2-line block ×4, first 2 shown]
	v_fma_f32 v11, v28, v80, -v11
	ds_write2_b64 v118, v[12:13], v[2:3] offset0:84 offset1:98
	ds_write2_b64 v118, v[29:30], v[4:5] offset0:112 offset1:126
	ds_write2_b64 v118, v[6:7], v[8:9] offset0:140 offset1:154
	ds_write_b64 v118, v[10:11] offset:1344
	s_and_saveexec_b32 s12, vcc_lo
	s_cbranch_execz .LBB0_3
; %bb.2:
	v_mad_u64_u32 v[2:3], null, 0x68, s0, v[0:1]
	v_mad_u64_u32 v[4:5], null, 0xd8, s0, v[0:1]
	v_mad_u64_u32 v[6:7], null, 0x148, s0, v[0:1]
	v_mad_u64_u32 v[8:9], null, 0x1b8, s0, v[0:1]
	v_mad_u64_u32 v[10:11], null, 0x228, s0, v[0:1]
	v_mad_u64_u32 v[12:13], null, 0x68, s1, v[3:4]
	v_mov_b32_e32 v3, v5
	v_mad_u64_u32 v[13:14], null, 0x298, s0, v[0:1]
	v_mov_b32_e32 v5, v7
	v_mov_b32_e32 v7, v9
	v_mad_u64_u32 v[15:16], null, 0xd8, s1, v[3:4]
	v_mov_b32_e32 v3, v12
	v_mov_b32_e32 v9, v11
	v_mad_u64_u32 v[16:17], null, 0x1b8, s1, v[7:8]
	v_mad_u64_u32 v[11:12], null, 0x148, s1, v[5:6]
	global_load_dwordx2 v[2:3], v[2:3], off
	v_mad_u64_u32 v[19:20], null, 0x228, s1, v[9:10]
	v_mad_u64_u32 v[17:18], null, 0x308, s0, v[0:1]
	v_mov_b32_e32 v12, v14
	v_mad_u64_u32 v[20:21], null, 0x378, s0, v[0:1]
	v_mov_b32_e32 v5, v15
	v_mov_b32_e32 v9, v16
	v_mad_u64_u32 v[15:16], null, 0x298, s1, v[12:13]
	v_mad_u64_u32 v[22:23], null, 0x3e8, s0, v[0:1]
	v_mov_b32_e32 v14, v18
	v_mov_b32_e32 v12, v21
	;; [unrolled: 1-line block ×4, first 2 shown]
	v_mad_u64_u32 v[24:25], null, 0x458, s0, v[0:1]
	v_mad_u64_u32 v[18:19], null, 0x308, s1, v[14:15]
	v_mov_b32_e32 v14, v15
	v_mad_u64_u32 v[15:16], null, 0x378, s1, v[12:13]
	v_mov_b32_e32 v12, v23
	s_clause 0x3
	global_load_dwordx2 v[4:5], v[4:5], off
	global_load_dwordx2 v[6:7], v[6:7], off
	;; [unrolled: 1-line block ×4, first 2 shown]
	v_mad_u64_u32 v[26:27], null, 0x3e8, s1, v[12:13]
	v_mad_u64_u32 v[27:28], null, 0x4c8, s0, v[0:1]
	v_mov_b32_e32 v21, v15
	v_mad_u64_u32 v[15:16], null, 0x538, s0, v[0:1]
	v_mov_b32_e32 v12, v25
	;; [unrolled: 2-line block ×3, first 2 shown]
	v_mov_b32_e32 v23, v26
	v_mad_u64_u32 v[25:26], null, 0x458, s1, v[12:13]
	v_mov_b32_e32 v12, v16
	v_mad_u64_u32 v[28:29], null, 0x4c8, s1, v[19:20]
	v_mad_u64_u32 v[29:30], null, 0x538, s1, v[12:13]
	s_clause 0x4
	global_load_dwordx2 v[12:13], v[13:14], off
	global_load_dwordx2 v[17:18], v[17:18], off
	;; [unrolled: 1-line block ×5, first 2 shown]
	v_mov_b32_e32 v16, v29
	s_waitcnt vmcnt(9)
	v_mad_u64_u32 v[30:31], null, 0x5a8, s1, v[1:2]
	v_mov_b32_e32 v1, v30
	s_clause 0x2
	global_load_dwordx2 v[25:26], v[27:28], off
	global_load_dwordx2 v[14:15], v[15:16], off
	;; [unrolled: 1-line block ×3, first 2 shown]
	s_clause 0xc
	s_load_dwordx2 s[0:1], s[6:7], 0x68
	s_load_dwordx2 s[14:15], s[6:7], 0xd8
	;; [unrolled: 1-line block ×13, first 2 shown]
	s_waitcnt lgkmcnt(0)
	v_mul_f32_e32 v27, s1, v3
	v_mul_f32_e32 v28, s1, v2
	s_waitcnt vmcnt(11)
	v_mul_f32_e32 v29, s15, v5
	v_mul_f32_e32 v30, s15, v4
	s_waitcnt vmcnt(10)
	;; [unrolled: 3-line block ×4, first 2 shown]
	v_mul_f32_e32 v35, s21, v11
	v_mul_f32_e32 v36, s21, v10
	v_fmac_f32_e32 v27, s0, v2
	v_fma_f32 v28, v3, s0, -v28
	v_fmac_f32_e32 v29, s14, v4
	v_fma_f32 v30, v5, s14, -v30
	;; [unrolled: 2-line block ×5, first 2 shown]
	s_waitcnt vmcnt(6)
	v_mul_f32_e32 v16, s25, v18
	v_mul_f32_e32 v37, s23, v13
	;; [unrolled: 1-line block ×4, first 2 shown]
	s_waitcnt vmcnt(5)
	v_mul_f32_e32 v39, s27, v20
	v_mul_f32_e32 v42, s27, v19
	s_waitcnt vmcnt(4)
	v_mul_f32_e32 v41, s29, v22
	v_mul_f32_e32 v44, s29, v21
	;; [unrolled: 3-line block ×3, first 2 shown]
	v_fmac_f32_e32 v37, s22, v12
	v_fma_f32 v38, v13, s22, -v38
	v_fmac_f32_e32 v16, s24, v17
	v_fma_f32 v17, v18, s24, -v40
	;; [unrolled: 2-line block ×5, first 2 shown]
	s_waitcnt vmcnt(2)
	v_mul_f32_e32 v45, s35, v26
	v_mul_f32_e32 v48, s35, v25
	s_waitcnt vmcnt(1)
	v_mul_f32_e32 v47, s37, v15
	v_mul_f32_e32 v50, s37, v14
	;; [unrolled: 3-line block ×3, first 2 shown]
	v_fmac_f32_e32 v45, s34, v25
	v_fma_f32 v46, v26, s34, -v48
	v_fmac_f32_e32 v47, s36, v14
	v_fma_f32 v48, v15, s36, -v50
	;; [unrolled: 2-line block ×3, first 2 shown]
	ds_write2_b64 v115, v[27:28], v[29:30] offset0:13 offset1:27
	ds_write2_b64 v115, v[31:32], v[33:34] offset0:41 offset1:55
	;; [unrolled: 1-line block ×6, first 2 shown]
	ds_write_b64 v115, v[49:50] offset:1448
.LBB0_3:
	s_or_b32 exec_lo, exec_lo, s12
	s_waitcnt lgkmcnt(0)
	s_barrier
	buffer_gl0_inv
	ds_read2_b64 v[44:47], v118 offset1:14
	ds_read2_b64 v[12:15], v118 offset0:28 offset1:42
	ds_read2_b64 v[4:7], v118 offset0:56 offset1:70
	;; [unrolled: 1-line block ×5, first 2 shown]
	ds_read_b64 v[52:53], v118 offset:1344
	s_load_dwordx2 s[0:1], s[4:5], 0x8
	v_add_co_u32 v48, s4, s6, v113
	v_mov_b32_e32 v20, 0
	v_add_co_ci_u32_e64 v49, null, s7, 0, s4
	v_mov_b32_e32 v21, 0
                                        ; kill: def $vgpr22 killed $sgpr0 killed $exec
                                        ; implicit-def: $vgpr26
                                        ; implicit-def: $vgpr28
                                        ; implicit-def: $vgpr40
                                        ; implicit-def: $vgpr50
                                        ; implicit-def: $vgpr34
                                        ; implicit-def: $vgpr38
	s_and_saveexec_b32 s4, vcc_lo
	s_cbranch_execz .LBB0_5
; %bb.4:
	ds_read2_b64 v[20:23], v115 offset0:13 offset1:27
	ds_read2_b64 v[36:39], v115 offset0:41 offset1:55
	;; [unrolled: 1-line block ×6, first 2 shown]
	ds_read_b64 v[50:51], v115 offset:1448
.LBB0_5:
	s_or_b32 exec_lo, exec_lo, s4
	s_waitcnt lgkmcnt(0)
	v_add_f32_e32 v55, v45, v47
	v_add_f32_e32 v54, v44, v46
	;; [unrolled: 1-line block ×3, first 2 shown]
	v_sub_f32_e32 v57, v47, v53
	v_sub_f32_e32 v46, v46, v52
	v_add_f32_e32 v55, v55, v13
	v_add_f32_e32 v54, v54, v12
	v_add_f32_e32 v47, v53, v47
	v_mul_f32_e32 v58, 0xbeedf032, v57
	v_mul_f32_e32 v59, 0xbeedf032, v46
	v_add_f32_e32 v55, v55, v15
	v_add_f32_e32 v54, v54, v14
	v_mul_f32_e32 v60, 0xbf52af12, v57
	v_mul_f32_e32 v61, 0xbf52af12, v46
	v_mul_f32_e32 v62, 0xbf7e222b, v57
	v_add_f32_e32 v55, v55, v5
	v_add_f32_e32 v54, v54, v4
	v_mul_f32_e32 v63, 0xbf7e222b, v46
	;; [unrolled: 5-line block ×3, first 2 shown]
	v_mul_f32_e32 v57, 0xbe750f2a, v57
	v_sub_f32_e32 v104, v13, v19
	v_add_f32_e32 v55, v55, v1
	v_add_f32_e32 v54, v54, v0
	;; [unrolled: 1-line block ×3, first 2 shown]
	v_sub_f32_e32 v12, v12, v18
	v_fma_f32 v65, 0x3f62ad3f, v56, -v58
	v_add_f32_e32 v55, v55, v3
	v_add_f32_e32 v54, v54, v2
	v_fmamk_f32 v66, v47, 0x3f62ad3f, v59
	v_fmac_f32_e32 v58, 0x3f62ad3f, v56
	v_fma_f32 v59, 0x3f62ad3f, v47, -v59
	v_add_f32_e32 v55, v55, v9
	v_add_f32_e32 v54, v54, v8
	v_fma_f32 v67, 0x3f116cb1, v56, -v60
	v_fmamk_f32 v68, v47, 0x3f116cb1, v61
	v_fmac_f32_e32 v60, 0x3f116cb1, v56
	v_add_f32_e32 v55, v55, v11
	v_add_f32_e32 v54, v54, v10
	v_fma_f32 v61, 0x3f116cb1, v47, -v61
	v_fma_f32 v69, 0x3df6dbef, v56, -v62
	v_fmamk_f32 v70, v47, 0x3df6dbef, v63
	v_add_f32_e32 v55, v55, v17
	v_add_f32_e32 v54, v54, v16
	v_fmac_f32_e32 v62, 0x3df6dbef, v56
	v_fma_f32 v63, 0x3df6dbef, v47, -v63
	v_fma_f32 v101, 0xbf3f9e67, v56, -v99
	v_add_f32_e32 v55, v55, v19
	v_add_f32_e32 v54, v54, v18
	v_fmamk_f32 v102, v47, 0xbf3f9e67, v100
	v_fmac_f32_e32 v99, 0xbf3f9e67, v56
	v_fma_f32 v100, 0xbf3f9e67, v47, -v100
	v_add_f32_e32 v53, v55, v53
	v_mul_f32_e32 v55, 0xbf6f5d39, v46
	v_mul_f32_e32 v46, 0xbe750f2a, v46
	v_add_f32_e32 v52, v54, v52
	v_fma_f32 v54, 0xbeb58ec6, v56, -v64
	v_fmac_f32_e32 v64, 0xbeb58ec6, v56
	v_fmamk_f32 v71, v47, 0xbeb58ec6, v55
	v_fma_f32 v55, 0xbeb58ec6, v47, -v55
	v_fma_f32 v103, 0xbf788fa5, v56, -v57
	v_fmamk_f32 v105, v47, 0xbf788fa5, v46
	v_mul_f32_e32 v107, 0xbf52af12, v104
	v_fmac_f32_e32 v57, 0xbf788fa5, v56
	v_fma_f32 v18, 0xbf788fa5, v47, -v46
	v_add_f32_e32 v13, v19, v13
	v_mul_f32_e32 v46, 0xbf52af12, v12
	v_add_f32_e32 v65, v44, v65
	v_add_f32_e32 v66, v45, v66
	;; [unrolled: 1-line block ×21, first 2 shown]
	v_fma_f32 v19, 0x3f116cb1, v106, -v107
	v_add_f32_e32 v47, v45, v105
	v_add_f32_e32 v44, v44, v57
	;; [unrolled: 1-line block ×3, first 2 shown]
	v_fmamk_f32 v45, v13, 0x3f116cb1, v46
	v_mul_f32_e32 v56, 0xbf6f5d39, v104
	v_fma_f32 v46, 0x3f116cb1, v13, -v46
	v_mul_f32_e32 v57, 0xbf6f5d39, v12
	v_add_f32_e32 v19, v19, v65
	v_add_f32_e32 v45, v45, v66
	v_fma_f32 v65, 0xbeb58ec6, v106, -v56
	v_add_f32_e32 v46, v46, v59
	v_fmamk_f32 v59, v13, 0xbeb58ec6, v57
	v_mul_f32_e32 v66, 0xbe750f2a, v104
	v_fmac_f32_e32 v56, 0xbeb58ec6, v106
	v_add_f32_e32 v65, v65, v67
	v_fma_f32 v57, 0xbeb58ec6, v13, -v57
	v_add_f32_e32 v59, v59, v68
	v_fma_f32 v67, 0xbf788fa5, v106, -v66
	v_mul_f32_e32 v68, 0xbe750f2a, v12
	v_add_f32_e32 v56, v56, v60
	v_add_f32_e32 v57, v57, v61
	v_mul_f32_e32 v60, 0x3f29c268, v104
	v_add_f32_e32 v61, v67, v69
	v_fmamk_f32 v67, v13, 0xbf788fa5, v68
	v_fmac_f32_e32 v66, 0xbf788fa5, v106
	v_fma_f32 v68, 0xbf788fa5, v13, -v68
	v_mul_f32_e32 v105, 0x3f29c268, v12
	v_fma_f32 v69, 0xbf3f9e67, v106, -v60
	v_add_f32_e32 v67, v67, v70
	v_add_f32_e32 v62, v66, v62
	;; [unrolled: 1-line block ×3, first 2 shown]
	v_fmamk_f32 v66, v13, 0xbf3f9e67, v105
	v_mul_f32_e32 v68, 0x3f7e222b, v104
	v_fma_f32 v70, 0xbf3f9e67, v13, -v105
	v_add_f32_e32 v54, v69, v54
	v_fmac_f32_e32 v60, 0xbf3f9e67, v106
	v_mul_f32_e32 v69, 0x3f7e222b, v12
	v_add_f32_e32 v66, v66, v71
	v_fma_f32 v71, 0x3df6dbef, v106, -v68
	v_add_f32_e32 v55, v70, v55
	v_mul_f32_e32 v70, 0x3eedf032, v104
	v_fmac_f32_e32 v68, 0x3df6dbef, v106
	v_add_f32_e32 v60, v60, v64
	v_fmamk_f32 v64, v13, 0x3df6dbef, v69
	v_add_f32_e32 v71, v71, v101
	v_fma_f32 v69, 0x3df6dbef, v13, -v69
	v_fma_f32 v101, 0x3f62ad3f, v106, -v70
	v_add_f32_e32 v68, v68, v99
	v_sub_f32_e32 v99, v15, v17
	v_add_f32_e32 v64, v64, v102
	v_mul_f32_e32 v12, 0x3eedf032, v12
	v_add_f32_e32 v69, v69, v100
	v_add_f32_e32 v100, v101, v103
	;; [unrolled: 1-line block ×3, first 2 shown]
	v_mul_f32_e32 v103, 0xbf7e222b, v99
	v_sub_f32_e32 v14, v14, v16
	v_fmamk_f32 v101, v13, 0x3f62ad3f, v12
	v_fma_f32 v12, 0x3f62ad3f, v13, -v12
	v_add_f32_e32 v13, v17, v15
	v_fma_f32 v15, 0x3df6dbef, v102, -v103
	v_mul_f32_e32 v16, 0xbf7e222b, v14
	v_fmac_f32_e32 v70, 0x3f62ad3f, v106
	v_add_f32_e32 v17, v101, v47
	v_add_f32_e32 v12, v12, v18
	;; [unrolled: 1-line block ×3, first 2 shown]
	v_fmamk_f32 v18, v13, 0x3df6dbef, v16
	v_mul_f32_e32 v19, 0xbe750f2a, v99
	v_fma_f32 v16, 0x3df6dbef, v13, -v16
	v_mul_f32_e32 v47, 0xbe750f2a, v14
	v_add_f32_e32 v44, v70, v44
	v_add_f32_e32 v18, v18, v45
	v_fma_f32 v45, 0xbf788fa5, v102, -v19
	v_add_f32_e32 v16, v16, v46
	v_fmamk_f32 v46, v13, 0xbf788fa5, v47
	v_mul_f32_e32 v70, 0x3f6f5d39, v99
	v_fmac_f32_e32 v19, 0xbf788fa5, v102
	v_add_f32_e32 v45, v45, v65
	v_fma_f32 v47, 0xbf788fa5, v13, -v47
	v_add_f32_e32 v46, v46, v59
	v_fma_f32 v59, 0xbeb58ec6, v102, -v70
	v_mul_f32_e32 v65, 0x3f6f5d39, v14
	v_add_f32_e32 v19, v19, v56
	v_mul_f32_e32 v56, 0x3eedf032, v99
	v_add_f32_e32 v47, v47, v57
	v_add_f32_e32 v57, v59, v61
	v_fmamk_f32 v59, v13, 0xbeb58ec6, v65
	v_fma_f32 v61, 0xbeb58ec6, v13, -v65
	v_fma_f32 v65, 0x3f62ad3f, v102, -v56
	v_mul_f32_e32 v101, 0x3eedf032, v14
	v_fmac_f32_e32 v70, 0xbeb58ec6, v102
	v_add_f32_e32 v59, v59, v67
	v_add_f32_e32 v61, v61, v63
	;; [unrolled: 1-line block ×3, first 2 shown]
	v_fmamk_f32 v63, v13, 0x3f62ad3f, v101
	v_mul_f32_e32 v65, 0xbf52af12, v99
	v_fmac_f32_e32 v56, 0x3f62ad3f, v102
	v_mul_f32_e32 v67, 0xbf52af12, v14
	v_add_f32_e32 v62, v70, v62
	v_add_f32_e32 v63, v63, v66
	v_fma_f32 v66, 0x3f116cb1, v102, -v65
	v_fmac_f32_e32 v65, 0x3f116cb1, v102
	v_fma_f32 v70, 0x3f62ad3f, v13, -v101
	v_add_f32_e32 v56, v56, v60
	v_fmamk_f32 v60, v13, 0x3f116cb1, v67
	v_add_f32_e32 v66, v66, v71
	v_add_f32_e32 v65, v65, v68
	v_sub_f32_e32 v68, v5, v11
	v_add_f32_e32 v55, v70, v55
	v_mul_f32_e32 v70, 0xbf29c268, v99
	v_add_f32_e32 v60, v60, v64
	v_fma_f32 v64, 0x3f116cb1, v13, -v67
	v_mul_f32_e32 v14, 0xbf29c268, v14
	v_add_f32_e32 v71, v10, v4
	v_mul_f32_e32 v99, 0xbf6f5d39, v68
	v_sub_f32_e32 v4, v4, v10
	v_fma_f32 v67, 0xbf3f9e67, v102, -v70
	v_add_f32_e32 v64, v64, v69
	v_fmamk_f32 v69, v13, 0xbf3f9e67, v14
	v_fmac_f32_e32 v70, 0xbf3f9e67, v102
	v_fma_f32 v10, 0xbf3f9e67, v13, -v14
	v_add_f32_e32 v5, v11, v5
	v_fma_f32 v11, 0xbeb58ec6, v71, -v99
	v_mul_f32_e32 v13, 0xbf6f5d39, v4
	v_add_f32_e32 v14, v69, v17
	v_add_f32_e32 v17, v70, v44
	;; [unrolled: 1-line block ×4, first 2 shown]
	v_fmamk_f32 v12, v5, 0xbeb58ec6, v13
	v_mul_f32_e32 v15, 0x3f29c268, v68
	v_fma_f32 v13, 0xbeb58ec6, v5, -v13
	v_mul_f32_e32 v44, 0x3f29c268, v4
	v_mul_f32_e32 v69, 0x3eedf032, v68
	v_add_f32_e32 v12, v12, v18
	v_fma_f32 v18, 0xbf3f9e67, v71, -v15
	v_add_f32_e32 v13, v13, v16
	v_fmamk_f32 v16, v5, 0xbf3f9e67, v44
	v_fmac_f32_e32 v15, 0xbf3f9e67, v71
	v_fma_f32 v44, 0xbf3f9e67, v5, -v44
	v_add_f32_e32 v18, v18, v45
	v_fma_f32 v45, 0x3f62ad3f, v71, -v69
	v_add_f32_e32 v16, v16, v46
	v_mul_f32_e32 v46, 0x3eedf032, v4
	v_add_f32_e32 v15, v15, v19
	v_add_f32_e32 v19, v44, v47
	v_mul_f32_e32 v44, 0xbf7e222b, v68
	v_add_f32_e32 v45, v45, v57
	v_fmamk_f32 v47, v5, 0x3f62ad3f, v46
	v_fmac_f32_e32 v69, 0x3f62ad3f, v71
	v_fma_f32 v46, 0x3f62ad3f, v5, -v46
	v_fma_f32 v57, 0x3df6dbef, v71, -v44
	v_mul_f32_e32 v70, 0xbf7e222b, v4
	v_add_f32_e32 v47, v47, v59
	v_add_f32_e32 v59, v69, v62
	v_add_f32_e32 v46, v46, v61
	v_add_f32_e32 v54, v57, v54
	v_fmamk_f32 v57, v5, 0x3df6dbef, v70
	v_mul_f32_e32 v61, 0x3e750f2a, v68
	v_fmac_f32_e32 v44, 0x3df6dbef, v71
	v_mul_f32_e32 v62, 0x3e750f2a, v4
	v_mul_f32_e32 v68, 0x3f52af12, v68
	v_add_f32_e32 v57, v57, v63
	v_fma_f32 v63, 0xbf788fa5, v71, -v61
	v_add_f32_e32 v44, v44, v56
	v_fmamk_f32 v56, v5, 0xbf788fa5, v62
	v_fmac_f32_e32 v61, 0xbf788fa5, v71
	v_add_f32_e32 v67, v67, v100
	v_add_f32_e32 v63, v63, v66
	v_mul_f32_e32 v4, 0x3f52af12, v4
	v_add_f32_e32 v56, v56, v60
	v_fma_f32 v60, 0xbf788fa5, v5, -v62
	v_fma_f32 v62, 0x3f116cb1, v71, -v68
	v_add_f32_e32 v61, v61, v65
	v_sub_f32_e32 v65, v7, v9
	v_add_f32_e32 v66, v8, v6
	v_sub_f32_e32 v6, v6, v8
	v_add_f32_e32 v62, v62, v67
	v_fma_f32 v69, 0x3df6dbef, v5, -v70
	v_mul_f32_e32 v67, 0xbf29c268, v65
	v_add_f32_e32 v60, v60, v64
	v_fmamk_f32 v64, v5, 0x3f116cb1, v4
	v_fma_f32 v4, 0x3f116cb1, v5, -v4
	v_add_f32_e32 v5, v9, v7
	v_fma_f32 v7, 0xbf3f9e67, v66, -v67
	v_mul_f32_e32 v8, 0xbf29c268, v6
	v_fmac_f32_e32 v68, 0x3f116cb1, v71
	v_add_f32_e32 v4, v4, v10
	v_fmac_f32_e32 v107, 0x3f116cb1, v106
	v_add_f32_e32 v7, v7, v11
	v_fmamk_f32 v10, v5, 0xbf3f9e67, v8
	v_mul_f32_e32 v11, 0x3f7e222b, v65
	v_add_f32_e32 v9, v64, v14
	v_add_f32_e32 v14, v68, v17
	v_fma_f32 v8, 0xbf3f9e67, v5, -v8
	v_mul_f32_e32 v17, 0x3f7e222b, v6
	v_add_f32_e32 v10, v10, v12
	v_fma_f32 v12, 0x3df6dbef, v66, -v11
	v_add_f32_e32 v58, v107, v58
	v_fmac_f32_e32 v103, 0x3df6dbef, v102
	v_add_f32_e32 v8, v8, v13
	v_fmamk_f32 v13, v5, 0x3df6dbef, v17
	v_mul_f32_e32 v64, 0xbf52af12, v65
	v_add_f32_e32 v12, v12, v18
	v_fmac_f32_e32 v11, 0x3df6dbef, v66
	v_fma_f32 v17, 0x3df6dbef, v5, -v17
	v_mul_f32_e32 v18, 0xbf52af12, v6
	v_add_f32_e32 v58, v103, v58
	v_fmac_f32_e32 v99, 0xbeb58ec6, v71
	v_add_f32_e32 v13, v13, v16
	v_fma_f32 v16, 0x3f116cb1, v66, -v64
	v_add_f32_e32 v11, v11, v15
	v_add_f32_e32 v15, v17, v19
	v_mul_f32_e32 v17, 0x3e750f2a, v65
	v_fmamk_f32 v19, v5, 0x3f116cb1, v18
	v_fmac_f32_e32 v64, 0x3f116cb1, v66
	v_add_f32_e32 v58, v99, v58
	v_fmac_f32_e32 v67, 0xbf3f9e67, v66
	v_add_f32_e32 v16, v16, v45
	v_fma_f32 v45, 0xbf788fa5, v66, -v17
	v_add_f32_e32 v19, v19, v47
	v_add_f32_e32 v47, v64, v59
	v_fmac_f32_e32 v17, 0xbf788fa5, v66
	v_mul_f32_e32 v59, 0x3eedf032, v6
	v_add_f32_e32 v58, v67, v58
	v_fma_f32 v18, 0x3f116cb1, v5, -v18
	v_mul_f32_e32 v67, 0x3e750f2a, v6
	v_add_f32_e32 v17, v17, v44
	v_fmamk_f32 v44, v5, 0x3f62ad3f, v59
	v_add_f32_e32 v45, v45, v54
	v_add_f32_e32 v18, v18, v46
	v_fmamk_f32 v46, v5, 0xbf788fa5, v67
	v_mul_f32_e32 v54, 0x3eedf032, v65
	v_add_f32_e32 v44, v44, v56
	v_fma_f32 v56, 0x3f62ad3f, v5, -v59
	v_sub_f32_e32 v99, v1, v3
	v_add_f32_e32 v55, v69, v55
	v_fma_f32 v64, 0xbf788fa5, v5, -v67
	v_add_f32_e32 v46, v46, v57
	v_fma_f32 v57, 0x3f62ad3f, v66, -v54
	v_fmac_f32_e32 v54, 0x3f62ad3f, v66
	v_mul_f32_e32 v6, 0xbf6f5d39, v6
	v_add_f32_e32 v100, v56, v60
	v_add_f32_e32 v103, v2, v0
	v_mul_f32_e32 v56, 0xbe750f2a, v99
	v_sub_f32_e32 v2, v0, v2
	v_add_f32_e32 v67, v64, v55
	v_mul_f32_e32 v55, 0xbf6f5d39, v65
	v_add_f32_e32 v69, v54, v61
	v_fmamk_f32 v54, v5, 0xbeb58ec6, v6
	v_fma_f32 v0, 0xbeb58ec6, v5, -v6
	v_add_f32_e32 v3, v3, v1
	v_fma_f32 v1, 0xbf788fa5, v103, -v56
	v_mul_f32_e32 v5, 0xbe750f2a, v2
	v_add_f32_e32 v68, v57, v63
	v_fma_f32 v57, 0xbeb58ec6, v66, -v55
	v_fmac_f32_e32 v55, 0xbeb58ec6, v66
	v_add_f32_e32 v6, v54, v9
	v_add_f32_e32 v4, v0, v4
	v_add_f32_e32 v54, v1, v7
	v_fmamk_f32 v0, v3, 0xbf788fa5, v5
	v_mul_f32_e32 v7, 0x3eedf032, v99
	v_fma_f32 v1, 0xbf788fa5, v3, -v5
	v_mul_f32_e32 v5, 0x3eedf032, v2
	v_add_f32_e32 v9, v55, v14
	v_fmac_f32_e32 v56, 0xbf788fa5, v103
	v_add_f32_e32 v55, v0, v10
	v_fma_f32 v10, 0x3f62ad3f, v103, -v7
	v_add_f32_e32 v1, v1, v8
	v_fmamk_f32 v8, v3, 0x3f62ad3f, v5
	v_mul_f32_e32 v14, 0xbf29c268, v99
	v_add_f32_e32 v0, v56, v58
	v_add_f32_e32 v58, v10, v12
	v_fma_f32 v5, 0x3f62ad3f, v3, -v5
	v_add_f32_e32 v59, v8, v13
	v_fma_f32 v8, 0xbf3f9e67, v103, -v14
	v_mul_f32_e32 v10, 0xbf29c268, v2
	v_add_f32_e32 v101, v57, v62
	v_fmac_f32_e32 v7, 0x3f62ad3f, v103
	v_add_f32_e32 v57, v5, v15
	v_mul_f32_e32 v5, 0x3f52af12, v99
	v_add_f32_e32 v62, v8, v16
	v_fma_f32 v8, 0xbf3f9e67, v3, -v10
	v_add_f32_e32 v56, v7, v11
	v_fmamk_f32 v7, v3, 0xbf3f9e67, v10
	v_fma_f32 v10, 0x3f116cb1, v103, -v5
	v_mul_f32_e32 v11, 0x3f52af12, v2
	v_add_f32_e32 v61, v8, v18
	v_fmac_f32_e32 v5, 0x3f116cb1, v103
	v_mul_f32_e32 v8, 0xbf6f5d39, v99
	v_add_f32_e32 v63, v7, v19
	v_add_f32_e32 v64, v10, v45
	v_fmamk_f32 v7, v3, 0x3f116cb1, v11
	v_mul_f32_e32 v10, 0xbf6f5d39, v2
	v_add_f32_e32 v66, v5, v17
	v_fma_f32 v5, 0xbeb58ec6, v103, -v8
	v_fmac_f32_e32 v8, 0xbeb58ec6, v103
	v_sub_f32_e32 v17, v23, v51
	v_fmac_f32_e32 v14, 0xbf3f9e67, v103
	v_fma_f32 v11, 0x3f116cb1, v3, -v11
	v_add_f32_e32 v65, v7, v46
	v_fmamk_f32 v7, v3, 0xbeb58ec6, v10
	v_fma_f32 v10, 0xbeb58ec6, v3, -v10
	v_add_f32_e32 v70, v5, v68
	v_mul_f32_e32 v5, 0x3f7e222b, v99
	v_add_f32_e32 v68, v8, v69
	v_mul_f32_e32 v2, 0x3f7e222b, v2
	;; [unrolled: 2-line block ×3, first 2 shown]
	v_add_f32_e32 v60, v14, v47
	v_add_f32_e32 v67, v11, v67
	;; [unrolled: 1-line block ×4, first 2 shown]
	v_fma_f32 v7, 0x3df6dbef, v103, -v5
	v_sub_f32_e32 v16, v22, v50
	v_fmamk_f32 v10, v3, 0x3df6dbef, v2
	v_fma_f32 v11, 0x3f62ad3f, v15, -v8
	v_sub_f32_e32 v47, v37, v43
	v_add_f32_e32 v101, v7, v101
	v_add_f32_e32 v14, v51, v23
	v_mul_f32_e32 v7, 0xbeedf032, v16
	v_add_f32_e32 v102, v10, v6
	v_add_f32_e32 v10, v11, v20
	;; [unrolled: 1-line block ×3, first 2 shown]
	v_mul_f32_e32 v11, 0xbf52af12, v47
	v_sub_f32_e32 v46, v36, v42
	v_fmamk_f32 v6, v14, 0x3f62ad3f, v7
	v_add_f32_e32 v44, v43, v37
	v_sub_f32_e32 v108, v39, v41
	v_fma_f32 v12, 0x3f116cb1, v45, -v11
	v_mul_f32_e32 v13, 0xbf52af12, v46
	v_sub_f32_e32 v107, v38, v40
	v_add_f32_e32 v6, v6, v21
	v_add_f32_e32 v105, v40, v38
	v_mul_f32_e32 v18, 0xbf7e222b, v108
	v_add_f32_e32 v10, v12, v10
	v_fmamk_f32 v12, v44, 0x3f116cb1, v13
	v_add_f32_e32 v106, v41, v39
	v_mul_f32_e32 v19, 0xbf7e222b, v107
	v_sub_f32_e32 v112, v33, v31
	v_fma_f32 v99, 0x3df6dbef, v105, -v18
	v_fma_f32 v2, 0x3df6dbef, v3, -v2
	v_add_f32_e32 v3, v12, v6
	v_fmamk_f32 v6, v106, 0x3df6dbef, v19
	v_add_f32_e32 v109, v30, v32
	v_sub_f32_e32 v111, v32, v30
	v_mul_f32_e32 v12, 0xbf6f5d39, v112
	v_sub_f32_e32 v122, v35, v29
	v_add_f32_e32 v10, v99, v10
	v_add_f32_e32 v3, v6, v3
	;; [unrolled: 1-line block ×3, first 2 shown]
	v_mul_f32_e32 v6, 0xbf6f5d39, v111
	v_fma_f32 v99, 0xbeb58ec6, v109, -v12
	v_sub_f32_e32 v121, v34, v28
	v_add_f32_e32 v119, v28, v34
	v_mul_f32_e32 v100, 0xbf29c268, v122
	v_fmac_f32_e32 v5, 0x3df6dbef, v103
	v_fmamk_f32 v104, v110, 0xbeb58ec6, v6
	v_add_f32_e32 v120, v29, v35
	v_mul_f32_e32 v127, 0xbf29c268, v121
	v_add_f32_e32 v10, v99, v10
	v_fma_f32 v99, 0xbf3f9e67, v119, -v100
	v_sub_f32_e32 v126, v25, v27
	v_sub_f32_e32 v125, v24, v26
	v_add_f32_e32 v103, v5, v9
	v_add_f32_e32 v3, v104, v3
	;; [unrolled: 1-line block ×3, first 2 shown]
	v_mul_f32_e32 v5, 0xbe750f2a, v126
	v_fmamk_f32 v9, v120, 0xbf3f9e67, v127
	v_add_f32_e32 v10, v99, v10
	v_add_f32_e32 v124, v27, v25
	v_mul_f32_e32 v99, 0xbe750f2a, v125
	v_fmac_f32_e32 v8, 0x3f62ad3f, v15
	v_fma_f32 v128, 0xbf788fa5, v123, -v5
	v_add_f32_e32 v104, v2, v4
	v_add_f32_e32 v3, v9, v3
	v_fmamk_f32 v4, v124, 0xbf788fa5, v99
	v_fma_f32 v7, 0x3f62ad3f, v14, -v7
	v_add_f32_e32 v8, v8, v20
	v_mul_f32_e32 v9, 0xbf52af12, v17
	v_fmac_f32_e32 v11, 0x3f116cb1, v45
	v_add_f32_e32 v2, v128, v10
	v_add_f32_e32 v3, v4, v3
	;; [unrolled: 1-line block ×3, first 2 shown]
	v_fma_f32 v7, 0x3f116cb1, v44, -v13
	v_fma_f32 v10, 0x3f116cb1, v15, -v9
	v_add_f32_e32 v8, v11, v8
	v_fmac_f32_e32 v18, 0x3df6dbef, v105
	v_mul_f32_e32 v11, 0xbf6f5d39, v47
	v_add_f32_e32 v4, v7, v4
	v_add_f32_e32 v7, v10, v20
	v_fma_f32 v10, 0x3df6dbef, v106, -v19
	v_add_f32_e32 v8, v18, v8
	v_fmac_f32_e32 v12, 0xbeb58ec6, v109
	v_mul_f32_e32 v18, 0xbf52af12, v16
	v_fma_f32 v13, 0xbeb58ec6, v45, -v11
	v_add_f32_e32 v4, v10, v4
	v_fma_f32 v6, 0xbeb58ec6, v110, -v6
	v_add_f32_e32 v8, v12, v8
	v_fmamk_f32 v10, v14, 0x3f116cb1, v18
	v_mul_f32_e32 v12, 0xbf6f5d39, v46
	v_add_f32_e32 v7, v13, v7
	v_add_f32_e32 v4, v6, v4
	v_fma_f32 v6, 0xbf3f9e67, v120, -v127
	v_add_f32_e32 v10, v10, v21
	v_fmamk_f32 v13, v44, 0xbeb58ec6, v12
	v_mul_f32_e32 v19, 0xbe750f2a, v108
	v_mul_f32_e32 v127, 0xbe750f2a, v107
	v_add_f32_e32 v4, v6, v4
	v_mul_f32_e32 v128, 0x3f29c268, v112
	v_add_f32_e32 v6, v13, v10
	v_fma_f32 v10, 0xbf788fa5, v105, -v19
	v_fmac_f32_e32 v100, 0xbf3f9e67, v119
	v_fmamk_f32 v13, v106, 0xbf788fa5, v127
	v_mul_f32_e32 v129, 0x3f29c268, v111
	v_mul_f32_e32 v130, 0x3f7e222b, v122
	v_add_f32_e32 v7, v10, v7
	v_fma_f32 v10, 0xbf3f9e67, v109, -v128
	v_add_f32_e32 v8, v100, v8
	v_add_f32_e32 v6, v13, v6
	v_fmamk_f32 v13, v110, 0xbf3f9e67, v129
	v_mul_f32_e32 v131, 0x3f7e222b, v121
	v_fma_f32 v100, 0xbf788fa5, v124, -v99
	v_add_f32_e32 v7, v10, v7
	v_fma_f32 v10, 0x3df6dbef, v119, -v130
	v_fmac_f32_e32 v5, 0xbf788fa5, v123
	v_add_f32_e32 v6, v13, v6
	v_fmamk_f32 v13, v120, 0x3df6dbef, v131
	v_add_f32_e32 v100, v100, v4
	v_fmac_f32_e32 v9, 0x3f116cb1, v15
	v_add_f32_e32 v4, v10, v7
	v_mul_f32_e32 v7, 0x3eedf032, v126
	v_add_f32_e32 v99, v5, v8
	v_add_f32_e32 v5, v13, v6
	v_fma_f32 v6, 0x3f116cb1, v14, -v18
	v_add_f32_e32 v8, v9, v20
	v_fmac_f32_e32 v11, 0xbeb58ec6, v45
	v_mul_f32_e32 v9, 0x3eedf032, v125
	v_fma_f32 v10, 0xbeb58ec6, v44, -v12
	v_fma_f32 v12, 0x3f62ad3f, v123, -v7
	v_add_f32_e32 v6, v6, v21
	v_add_f32_e32 v8, v11, v8
	v_fmac_f32_e32 v19, 0xbf788fa5, v105
	v_fmamk_f32 v11, v124, 0x3f62ad3f, v9
	v_add_f32_e32 v4, v12, v4
	v_mul_f32_e32 v12, 0xbf7e222b, v17
	v_add_f32_e32 v6, v10, v6
	v_fma_f32 v10, 0xbf788fa5, v106, -v127
	v_add_f32_e32 v8, v19, v8
	v_fmac_f32_e32 v128, 0xbf3f9e67, v109
	v_add_f32_e32 v5, v11, v5
	v_fma_f32 v11, 0x3df6dbef, v15, -v12
	v_mul_f32_e32 v13, 0xbe750f2a, v47
	v_add_f32_e32 v6, v10, v6
	v_fma_f32 v10, 0xbf3f9e67, v110, -v129
	v_add_f32_e32 v8, v128, v8
	v_fmac_f32_e32 v130, 0x3df6dbef, v119
	v_add_f32_e32 v11, v11, v20
	v_fma_f32 v18, 0xbf788fa5, v45, -v13
	;; [unrolled: 7-line block ×3, first 2 shown]
	v_mul_f32_e32 v127, 0x3eedf032, v112
	v_mul_f32_e32 v128, 0xbf7e222b, v16
	v_add_f32_e32 v6, v10, v6
	v_fma_f32 v9, 0x3f62ad3f, v124, -v9
	v_add_f32_e32 v10, v7, v8
	v_add_f32_e32 v7, v18, v11
	v_fma_f32 v8, 0x3f62ad3f, v109, -v127
	v_fmamk_f32 v18, v14, 0x3df6dbef, v128
	v_mul_f32_e32 v129, 0xbe750f2a, v46
	v_add_f32_e32 v11, v9, v6
	v_fmac_f32_e32 v12, 0x3df6dbef, v15
	v_add_f32_e32 v6, v8, v7
	v_add_f32_e32 v7, v18, v21
	v_fmamk_f32 v8, v44, 0xbf788fa5, v129
	v_mul_f32_e32 v18, 0x3f6f5d39, v107
	v_mul_f32_e32 v132, 0x3eedf032, v111
	v_add_f32_e32 v12, v12, v20
	v_fmac_f32_e32 v13, 0xbf788fa5, v45
	v_add_f32_e32 v7, v8, v7
	v_fmamk_f32 v8, v106, 0xbeb58ec6, v18
	v_fmac_f32_e32 v19, 0xbeb58ec6, v105
	v_mul_f32_e32 v9, 0xbf52af12, v122
	v_add_f32_e32 v12, v13, v12
	v_fma_f32 v13, 0x3df6dbef, v14, -v128
	v_add_f32_e32 v7, v8, v7
	v_fmamk_f32 v8, v110, 0x3f62ad3f, v132
	v_mul_f32_e32 v128, 0xbf52af12, v121
	v_fmac_f32_e32 v127, 0x3f62ad3f, v109
	v_fma_f32 v130, 0x3f116cb1, v119, -v9
	v_mul_f32_e32 v131, 0xbf29c268, v126
	v_add_f32_e32 v7, v8, v7
	v_add_f32_e32 v8, v19, v12
	;; [unrolled: 1-line block ×3, first 2 shown]
	v_fma_f32 v13, 0xbf788fa5, v44, -v129
	v_fmamk_f32 v19, v120, 0x3f116cb1, v128
	v_mul_f32_e32 v129, 0xbf29c268, v125
	v_add_f32_e32 v8, v127, v8
	v_fmac_f32_e32 v9, 0x3f116cb1, v119
	v_add_f32_e32 v12, v13, v12
	v_fma_f32 v13, 0xbeb58ec6, v106, -v18
	v_add_f32_e32 v7, v19, v7
	v_fmamk_f32 v18, v124, 0xbf3f9e67, v129
	v_add_f32_e32 v6, v130, v6
	v_fma_f32 v130, 0xbf3f9e67, v123, -v131
	v_add_f32_e32 v8, v9, v8
	v_add_f32_e32 v9, v13, v12
	v_fma_f32 v12, 0x3f62ad3f, v110, -v132
	v_mul_f32_e32 v13, 0xbf6f5d39, v17
	v_add_f32_e32 v7, v18, v7
	v_mul_f32_e32 v18, 0xbf6f5d39, v16
	v_add_f32_e32 v6, v130, v6
	v_fmac_f32_e32 v131, 0xbf3f9e67, v123
	v_add_f32_e32 v9, v12, v9
	v_fma_f32 v12, 0xbeb58ec6, v15, -v13
	v_mul_f32_e32 v19, 0x3f29c268, v47
	v_fmamk_f32 v127, v14, 0xbeb58ec6, v18
	v_mul_f32_e32 v130, 0x3f29c268, v46
	v_fma_f32 v128, 0x3f116cb1, v120, -v128
	v_add_f32_e32 v8, v131, v8
	v_add_f32_e32 v12, v12, v20
	v_fma_f32 v131, 0xbf3f9e67, v45, -v19
	v_add_f32_e32 v127, v127, v21
	v_fmamk_f32 v132, v44, 0xbf3f9e67, v130
	v_mul_f32_e32 v133, 0x3eedf032, v108
	v_add_f32_e32 v9, v128, v9
	v_mul_f32_e32 v128, 0x3eedf032, v107
	v_add_f32_e32 v12, v131, v12
	v_add_f32_e32 v127, v132, v127
	v_fma_f32 v131, 0x3f62ad3f, v105, -v133
	v_mul_f32_e32 v132, 0xbf7e222b, v112
	v_fmamk_f32 v134, v106, 0x3f62ad3f, v128
	v_mul_f32_e32 v135, 0xbf7e222b, v111
	v_fma_f32 v129, 0xbf3f9e67, v124, -v129
	v_fmac_f32_e32 v13, 0xbeb58ec6, v15
	v_fma_f32 v18, 0xbeb58ec6, v14, -v18
	v_add_f32_e32 v12, v131, v12
	v_fma_f32 v131, 0x3df6dbef, v109, -v132
	v_add_f32_e32 v127, v134, v127
	v_fmamk_f32 v134, v110, 0x3df6dbef, v135
	v_add_f32_e32 v9, v129, v9
	v_mul_f32_e32 v129, 0x3e750f2a, v122
	v_add_f32_e32 v13, v13, v20
	v_fmac_f32_e32 v19, 0xbf3f9e67, v45
	v_add_f32_e32 v18, v18, v21
	v_fma_f32 v130, 0xbf3f9e67, v44, -v130
	v_add_f32_e32 v12, v131, v12
	v_add_f32_e32 v127, v134, v127
	v_fma_f32 v131, 0xbf788fa5, v119, -v129
	v_mul_f32_e32 v134, 0x3e750f2a, v121
	v_add_f32_e32 v13, v19, v13
	v_fmac_f32_e32 v133, 0x3f62ad3f, v105
	v_add_f32_e32 v18, v130, v18
	v_fma_f32 v19, 0x3f62ad3f, v106, -v128
	v_add_f32_e32 v12, v131, v12
	v_fmamk_f32 v131, v120, 0xbf788fa5, v134
	v_mul_f32_e32 v128, 0x3f52af12, v126
	v_add_f32_e32 v13, v133, v13
	v_fmac_f32_e32 v132, 0x3df6dbef, v109
	v_add_f32_e32 v18, v19, v18
	v_fma_f32 v19, 0x3df6dbef, v110, -v135
	v_add_f32_e32 v127, v131, v127
	v_mul_f32_e32 v130, 0x3f52af12, v125
	v_fma_f32 v131, 0x3f116cb1, v123, -v128
	v_add_f32_e32 v13, v132, v13
	v_fmac_f32_e32 v129, 0xbf788fa5, v119
	v_add_f32_e32 v18, v19, v18
	v_fma_f32 v19, 0xbf788fa5, v120, -v134
	v_fmamk_f32 v132, v124, 0x3f116cb1, v130
	v_add_f32_e32 v12, v131, v12
	v_add_f32_e32 v129, v129, v13
	v_fmac_f32_e32 v128, 0x3f116cb1, v123
	v_add_f32_e32 v19, v19, v18
	v_fma_f32 v130, 0x3f116cb1, v124, -v130
	v_mul_f32_e32 v131, 0xbf29c268, v17
	v_add_f32_e32 v13, v132, v127
	v_add_f32_e32 v18, v128, v129
	v_mul_f32_e32 v17, 0xbe750f2a, v17
	v_add_f32_e32 v19, v130, v19
	v_fma_f32 v127, 0xbf3f9e67, v15, -v131
	v_mul_f32_e32 v128, 0xbf29c268, v16
	v_mul_f32_e32 v130, 0x3f7e222b, v47
	v_fmac_f32_e32 v131, 0xbf3f9e67, v15
	v_fma_f32 v129, 0xbf788fa5, v15, -v17
	v_fmac_f32_e32 v17, 0xbf788fa5, v15
	v_mul_f32_e32 v15, 0xbe750f2a, v16
	v_fmamk_f32 v16, v14, 0xbf3f9e67, v128
	v_add_f32_e32 v127, v127, v20
	v_fma_f32 v132, 0x3df6dbef, v45, -v130
	v_mul_f32_e32 v133, 0x3f7e222b, v46
	v_fma_f32 v128, 0xbf3f9e67, v14, -v128
	v_fmamk_f32 v134, v14, 0xbf788fa5, v15
	v_fma_f32 v14, 0xbf788fa5, v14, -v15
	v_add_f32_e32 v15, v132, v127
	v_add_f32_e32 v16, v16, v21
	v_fmamk_f32 v127, v44, 0x3df6dbef, v133
	v_add_f32_e32 v131, v131, v20
	v_mul_f32_e32 v47, 0x3eedf032, v47
	v_fmac_f32_e32 v130, 0x3df6dbef, v45
	v_mul_f32_e32 v46, 0x3eedf032, v46
	v_fma_f32 v132, 0x3df6dbef, v44, -v133
	v_add_f32_e32 v16, v127, v16
	v_fma_f32 v133, 0x3f62ad3f, v45, -v47
	v_add_f32_e32 v127, v130, v131
	v_fmamk_f32 v131, v44, 0x3f62ad3f, v46
	v_fmac_f32_e32 v47, 0x3f62ad3f, v45
	v_add_f32_e32 v17, v17, v20
	v_fma_f32 v44, 0x3f62ad3f, v44, -v46
	v_mul_f32_e32 v46, 0xbf52af12, v107
	v_add_f32_e32 v14, v14, v21
	v_add_f32_e32 v130, v134, v21
	;; [unrolled: 1-line block ×3, first 2 shown]
	v_mul_f32_e32 v45, 0xbf52af12, v108
	v_fmamk_f32 v47, v106, 0x3f116cb1, v46
	v_add_f32_e32 v14, v44, v14
	v_mul_f32_e32 v44, 0xbf29c268, v108
	v_add_f32_e32 v129, v129, v20
	v_add_f32_e32 v130, v131, v130
	;; [unrolled: 1-line block ×3, first 2 shown]
	v_mul_f32_e32 v47, 0xbf29c268, v107
	v_fma_f32 v131, 0x3f116cb1, v105, -v45
	v_fmac_f32_e32 v45, 0x3f116cb1, v105
	v_fma_f32 v46, 0x3f116cb1, v106, -v46
	v_fma_f32 v107, 0xbf3f9e67, v105, -v44
	v_fmac_f32_e32 v44, 0xbf3f9e67, v105
	v_fmamk_f32 v105, v106, 0xbf3f9e67, v47
	v_fma_f32 v47, 0xbf3f9e67, v106, -v47
	v_mul_f32_e32 v106, 0x3e750f2a, v112
	v_add_f32_e32 v128, v128, v21
	v_add_f32_e32 v129, v133, v129
	;; [unrolled: 1-line block ×5, first 2 shown]
	v_fma_f32 v44, 0xbf788fa5, v109, -v106
	v_add_f32_e32 v14, v47, v14
	v_fmac_f32_e32 v106, 0xbf788fa5, v109
	v_mul_f32_e32 v47, 0x3f52af12, v112
	v_add_f32_e32 v128, v132, v128
	v_mul_f32_e32 v108, 0x3e750f2a, v111
	v_add_f32_e32 v107, v107, v129
	v_add_f32_e32 v15, v44, v15
	v_mul_f32_e32 v44, 0x3f52af12, v111
	v_add_f32_e32 v45, v106, v45
	v_fma_f32 v106, 0x3f116cb1, v109, -v47
	v_add_f32_e32 v46, v46, v128
	v_fmamk_f32 v127, v110, 0xbf788fa5, v108
	v_fma_f32 v108, 0xbf788fa5, v110, -v108
	v_fmac_f32_e32 v47, 0x3f116cb1, v109
	v_fmamk_f32 v109, v110, 0x3f116cb1, v44
	v_fma_f32 v44, 0x3f116cb1, v110, -v44
	v_mul_f32_e32 v110, 0x3eedf032, v122
	v_add_f32_e32 v106, v106, v107
	v_mul_f32_e32 v107, 0x3eedf032, v121
	v_add_f32_e32 v16, v127, v16
	v_add_f32_e32 v46, v108, v46
	v_fma_f32 v108, 0x3f62ad3f, v119, -v110
	v_add_f32_e32 v17, v47, v17
	v_add_f32_e32 v14, v44, v14
	v_mul_f32_e32 v44, 0xbf6f5d39, v122
	v_fmamk_f32 v47, v120, 0x3f62ad3f, v107
	v_add_f32_e32 v105, v105, v130
	v_add_f32_e32 v15, v108, v15
	v_fma_f32 v107, 0x3f62ad3f, v120, -v107
	v_fma_f32 v108, 0xbeb58ec6, v119, -v44
	v_add_f32_e32 v16, v47, v16
	v_mul_f32_e32 v47, 0xbf6f5d39, v121
	v_add_f32_e32 v105, v109, v105
	v_fmac_f32_e32 v110, 0x3f62ad3f, v119
	v_add_f32_e32 v46, v107, v46
	v_add_f32_e32 v106, v108, v106
	v_mul_f32_e32 v107, 0xbf6f5d39, v126
	v_fmamk_f32 v108, v120, 0xbeb58ec6, v47
	v_mul_f32_e32 v109, 0xbf6f5d39, v125
	v_add_f32_e32 v45, v110, v45
	v_fmac_f32_e32 v44, 0xbeb58ec6, v119
	v_fma_f32 v47, 0xbeb58ec6, v120, -v47
	v_fma_f32 v110, 0xbeb58ec6, v123, -v107
	v_add_f32_e32 v105, v108, v105
	v_fmamk_f32 v108, v124, 0xbeb58ec6, v109
	v_fmac_f32_e32 v107, 0xbeb58ec6, v123
	v_add_f32_e32 v111, v44, v17
	v_add_f32_e32 v47, v47, v14
	;; [unrolled: 1-line block ×4, first 2 shown]
	v_fma_f32 v17, 0xbeb58ec6, v124, -v109
	v_mul_f32_e32 v108, 0x3f7e222b, v126
	v_mul_f32_e32 v44, 0x3f7e222b, v125
	v_add_f32_e32 v16, v107, v45
	v_mul_lo_u16 v45, v117, 13
	v_add_f32_e32 v17, v17, v46
	v_fma_f32 v46, 0x3df6dbef, v123, -v108
	v_fmamk_f32 v107, v124, 0x3df6dbef, v44
	v_fmac_f32_e32 v108, 0x3df6dbef, v123
	v_and_b32_e32 v109, 0xffff, v45
	v_fma_f32 v110, 0x3df6dbef, v124, -v44
	v_add_f32_e32 v44, v46, v106
	v_add_f32_e32 v45, v107, v105
	;; [unrolled: 1-line block ×3, first 2 shown]
	v_lshl_add_u32 v124, v109, 3, v115
	v_add_f32_e32 v47, v110, v47
	s_barrier
	buffer_gl0_inv
	ds_write2_b64 v124, v[52:53], v[54:55] offset1:1
	ds_write2_b64 v124, v[58:59], v[62:63] offset0:2 offset1:3
	ds_write2_b64 v124, v[64:65], v[70:71] offset0:4 offset1:5
	;; [unrolled: 1-line block ×5, first 2 shown]
	ds_write_b64 v124, v[0:1] offset:96
	s_and_saveexec_b32 s4, vcc_lo
	s_cbranch_execz .LBB0_7
; %bb.6:
	v_add_f32_e32 v0, v23, v21
	v_add_f32_e32 v1, v22, v20
	ds_write2_b64 v115, v[4:5], v[6:7] offset0:171 offset1:172
	v_add_f32_e32 v0, v37, v0
	v_add_f32_e32 v1, v36, v1
	;; [unrolled: 1-line block ×22, first 2 shown]
	ds_write2_b64 v115, v[12:13], v[14:15] offset0:173 offset1:174
	ds_write2_b64 v115, v[44:45], v[46:47] offset0:175 offset1:176
	;; [unrolled: 1-line block ×5, first 2 shown]
	ds_write_b64 v115, v[99:100] offset:1448
.LBB0_7:
	s_or_b32 exec_lo, exec_lo, s4
	v_add_nc_u16 v0, v117, 26
	v_add_nc_u16 v20, v117, 39
	;; [unrolled: 1-line block ×5, first 2 shown]
	v_and_b32_e32 v1, 0xff, v0
	v_and_b32_e32 v24, 0xff, v20
	;; [unrolled: 1-line block ×3, first 2 shown]
	v_lshlrev_b32_e32 v50, 3, v117
	v_and_b32_e32 v26, 0xff, v22
	v_mul_lo_u16 v1, 0x4f, v1
	v_mul_lo_u16 v24, 0x4f, v24
	v_and_b32_e32 v27, 0xff, v23
	v_mul_lo_u16 v25, 0x4f, v25
	s_waitcnt lgkmcnt(0)
	v_lshrrev_b16 v1, 10, v1
	s_barrier
	buffer_gl0_inv
	global_load_dwordx2 v[101:102], v50, s[0:1]
	v_mul_lo_u16 v26, 0x4f, v26
	v_mul_lo_u16 v1, v1, 13
	v_lshrrev_b16 v24, 10, v24
	v_mul_lo_u16 v27, 0x4f, v27
	v_lshrrev_b16 v25, 10, v25
	v_lshrrev_b16 v26, 10, v26
	v_sub_nc_u16 v0, v0, v1
	v_mul_lo_u16 v1, v24, 13
	v_lshrrev_b16 v24, 10, v27
	v_mul_lo_u16 v25, v25, 13
	v_mov_b32_e32 v27, 3
	v_mul_lo_u16 v26, v26, 13
	v_sub_nc_u16 v1, v20, v1
	v_mul_lo_u16 v20, v24, 13
	v_sub_nc_u16 v21, v21, v25
	v_lshlrev_b32_sdwa v55, v27, v0 dst_sel:DWORD dst_unused:UNUSED_PAD src0_sel:DWORD src1_sel:BYTE_0
	v_sub_nc_u16 v0, v22, v26
	v_lshlrev_b32_sdwa v56, v27, v1 dst_sel:DWORD dst_unused:UNUSED_PAD src0_sel:DWORD src1_sel:BYTE_0
	v_sub_nc_u16 v1, v23, v20
	v_lshlrev_b32_sdwa v57, v27, v21 dst_sel:DWORD dst_unused:UNUSED_PAD src0_sel:DWORD src1_sel:BYTE_0
	global_load_dwordx2 v[109:110], v55, s[0:1]
	v_lshlrev_b32_sdwa v58, v27, v0 dst_sel:DWORD dst_unused:UNUSED_PAD src0_sel:DWORD src1_sel:BYTE_0
	global_load_dwordx2 v[111:112], v56, s[0:1]
	v_lshlrev_b32_sdwa v59, v27, v1 dst_sel:DWORD dst_unused:UNUSED_PAD src0_sel:DWORD src1_sel:BYTE_0
	s_clause 0x2
	global_load_dwordx2 v[107:108], v57, s[0:1]
	global_load_dwordx2 v[105:106], v58, s[0:1]
	global_load_dwordx2 v[103:104], v59, s[0:1]
	ds_read2_b64 v[20:23], v118 offset0:78 offset1:91
	ds_read2_b64 v[24:27], v118 offset0:104 offset1:117
	ds_read2_b64 v[28:31], v118 offset1:13
	ds_read2_b64 v[32:35], v118 offset0:26 offset1:39
	ds_read2_b64 v[36:39], v118 offset0:130 offset1:143
	;; [unrolled: 1-line block ×4, first 2 shown]
	s_waitcnt vmcnt(0) lgkmcnt(0)
	s_barrier
	buffer_gl0_inv
	v_add_nc_u32_e32 v121, v115, v55
	v_add_nc_u32_e32 v122, v115, v56
	v_mad_u64_u32 v[0:1], null, v117, 48, s[0:1]
	v_add_nc_u32_e32 v123, v115, v57
	v_add_nc_u32_e32 v120, v115, v58
	;; [unrolled: 1-line block ×3, first 2 shown]
	v_lshl_add_u32 v125, v114, 3, v113
	s_add_u32 s0, s6, 0x5b0
	s_addc_u32 s1, s7, 0
	v_mul_f32_e32 v60, v23, v102
	v_mul_f32_e32 v61, v22, v102
	;; [unrolled: 1-line block ×4, first 2 shown]
	v_fma_f32 v22, v22, v101, -v60
	v_fmac_f32_e32 v61, v23, v101
	v_fma_f32 v24, v24, v101, -v62
	v_fmac_f32_e32 v63, v25, v101
	v_sub_f32_e32 v22, v28, v22
	v_sub_f32_e32 v23, v29, v61
	v_sub_f32_e32 v24, v30, v24
	v_sub_f32_e32 v25, v31, v63
	v_fma_f32 v28, v28, 2.0, -v22
	v_fma_f32 v29, v29, 2.0, -v23
	;; [unrolled: 1-line block ×4, first 2 shown]
	ds_write2_b64 v118, v[28:29], v[22:23] offset1:13
	ds_write2_b64 v118, v[30:31], v[24:25] offset0:26 offset1:39
	v_mul_f32_e32 v22, v27, v110
	v_mul_f32_e32 v23, v26, v110
	;; [unrolled: 1-line block ×10, first 2 shown]
	v_fma_f32 v22, v26, v109, -v22
	v_fmac_f32_e32 v23, v27, v109
	v_fma_f32 v24, v36, v111, -v24
	v_fmac_f32_e32 v25, v37, v111
	;; [unrolled: 2-line block ×5, first 2 shown]
	v_sub_f32_e32 v22, v32, v22
	v_sub_f32_e32 v23, v33, v23
	;; [unrolled: 1-line block ×10, first 2 shown]
	v_fma_f32 v32, v32, 2.0, -v22
	v_fma_f32 v33, v33, 2.0, -v23
	;; [unrolled: 1-line block ×10, first 2 shown]
	ds_write2_b64 v121, v[32:33], v[22:23] offset0:52 offset1:65
	ds_write2_b64 v122, v[34:35], v[24:25] offset0:78 offset1:91
	;; [unrolled: 1-line block ×5, first 2 shown]
	s_waitcnt lgkmcnt(0)
	s_barrier
	buffer_gl0_inv
	s_clause 0x5
	global_load_dwordx4 v[40:43], v[0:1], off offset:104
	global_load_dwordx4 v[32:35], v[0:1], off offset:120
	;; [unrolled: 1-line block ×6, first 2 shown]
	ds_read2_b64 v[51:54], v118 offset0:26 offset1:39
	ds_read2_b64 v[55:58], v118 offset0:52 offset1:65
	;; [unrolled: 1-line block ×6, first 2 shown]
	ds_read2_b64 v[130:133], v118 offset1:13
	s_waitcnt vmcnt(5) lgkmcnt(6)
	v_mul_f32_e32 v0, v52, v41
	v_mul_f32_e32 v1, v51, v41
	s_waitcnt lgkmcnt(5)
	v_mul_f32_e32 v71, v56, v43
	v_mul_f32_e32 v113, v55, v43
	s_waitcnt vmcnt(4) lgkmcnt(4)
	v_mul_f32_e32 v114, v60, v33
	s_waitcnt vmcnt(3) lgkmcnt(2)
	v_mul_f32_e32 v137, v68, v21
	v_mul_f32_e32 v138, v67, v21
	s_waitcnt lgkmcnt(1)
	v_mul_f32_e32 v139, v127, v23
	v_mul_f32_e32 v140, v126, v23
	;; [unrolled: 1-line block ×5, first 2 shown]
	s_waitcnt vmcnt(2)
	v_mul_f32_e32 v141, v54, v37
	v_mul_f32_e32 v142, v53, v37
	;; [unrolled: 1-line block ×4, first 2 shown]
	s_waitcnt vmcnt(1)
	v_mul_f32_e32 v145, v62, v29
	s_waitcnt vmcnt(0)
	v_mul_f32_e32 v149, v70, v25
	v_mul_f32_e32 v150, v69, v25
	;; [unrolled: 1-line block ×7, first 2 shown]
	v_fma_f32 v0, v51, v40, -v0
	v_fmac_f32_e32 v1, v52, v40
	v_fma_f32 v51, v55, v42, -v71
	v_fmac_f32_e32 v113, v56, v42
	v_fma_f32 v52, v59, v32, -v114
	v_fma_f32 v56, v67, v20, -v137
	v_fmac_f32_e32 v138, v68, v20
	v_fma_f32 v59, v126, v22, -v139
	v_fmac_f32_e32 v140, v127, v22
	v_fmac_f32_e32 v134, v60, v32
	v_fma_f32 v55, v63, v34, -v135
	v_fmac_f32_e32 v136, v64, v34
	v_fma_f32 v53, v53, v36, -v141
	;; [unrolled: 2-line block ×4, first 2 shown]
	v_fma_f32 v60, v69, v24, -v149
	v_fmac_f32_e32 v150, v70, v24
	v_fma_f32 v61, v128, v26, -v151
	v_fmac_f32_e32 v152, v129, v26
	v_fmac_f32_e32 v146, v62, v28
	v_fma_f32 v58, v65, v30, -v147
	v_fmac_f32_e32 v148, v66, v30
	v_add_f32_e32 v62, v0, v59
	v_add_f32_e32 v63, v1, v140
	v_sub_f32_e32 v0, v0, v59
	v_add_f32_e32 v59, v51, v56
	v_add_f32_e32 v64, v113, v138
	v_sub_f32_e32 v1, v1, v140
	v_sub_f32_e32 v51, v51, v56
	;; [unrolled: 1-line block ×3, first 2 shown]
	v_add_f32_e32 v65, v52, v55
	v_add_f32_e32 v66, v134, v136
	v_sub_f32_e32 v52, v55, v52
	v_sub_f32_e32 v55, v136, v134
	v_add_f32_e32 v67, v53, v61
	v_add_f32_e32 v68, v142, v152
	;; [unrolled: 1-line block ×4, first 2 shown]
	v_sub_f32_e32 v53, v53, v61
	v_sub_f32_e32 v61, v142, v152
	;; [unrolled: 1-line block ×4, first 2 shown]
	v_add_f32_e32 v71, v57, v58
	v_sub_f32_e32 v57, v58, v57
	v_sub_f32_e32 v58, v148, v146
	v_add_f32_e32 v114, v59, v62
	v_add_f32_e32 v126, v64, v63
	;; [unrolled: 1-line block ×3, first 2 shown]
	v_sub_f32_e32 v127, v59, v62
	v_sub_f32_e32 v128, v64, v63
	;; [unrolled: 1-line block ×6, first 2 shown]
	v_add_f32_e32 v129, v52, v51
	v_add_f32_e32 v134, v55, v56
	v_sub_f32_e32 v135, v52, v51
	v_sub_f32_e32 v136, v55, v56
	;; [unrolled: 1-line block ×5, first 2 shown]
	v_add_f32_e32 v51, v69, v67
	v_add_f32_e32 v52, v70, v68
	v_sub_f32_e32 v139, v69, v67
	v_sub_f32_e32 v67, v67, v71
	;; [unrolled: 1-line block ×3, first 2 shown]
	v_add_f32_e32 v141, v57, v54
	v_add_f32_e32 v142, v58, v60
	v_sub_f32_e32 v143, v57, v54
	v_sub_f32_e32 v144, v58, v60
	;; [unrolled: 1-line block ×4, first 2 shown]
	v_add_f32_e32 v65, v65, v114
	v_add_f32_e32 v66, v66, v126
	v_sub_f32_e32 v55, v1, v55
	v_sub_f32_e32 v140, v70, v68
	;; [unrolled: 1-line block ×4, first 2 shown]
	v_add_f32_e32 v0, v129, v0
	v_add_f32_e32 v1, v134, v1
	v_mul_f32_e32 v54, 0x3f4a47b2, v62
	v_mul_f32_e32 v62, 0x3f4a47b2, v63
	;; [unrolled: 1-line block ×8, first 2 shown]
	v_add_f32_e32 v71, v71, v51
	v_add_f32_e32 v113, v113, v52
	v_sub_f32_e32 v57, v53, v57
	v_sub_f32_e32 v58, v61, v58
	v_add_f32_e32 v136, v141, v53
	v_mul_f32_e32 v67, 0x3f4a47b2, v67
	v_mul_f32_e32 v141, 0x3d64c772, v69
	;; [unrolled: 1-line block ×6, first 2 shown]
	s_waitcnt lgkmcnt(0)
	v_add_f32_e32 v51, v130, v65
	v_add_f32_e32 v52, v131, v66
	;; [unrolled: 1-line block ×3, first 2 shown]
	v_mul_f32_e32 v68, 0x3f4a47b2, v68
	v_mul_f32_e32 v142, 0x3d64c772, v70
	v_fmamk_f32 v59, v59, 0x3d64c772, v54
	v_fmamk_f32 v64, v64, 0x3d64c772, v62
	v_fma_f32 v63, 0x3f3bfb3b, v127, -v63
	v_fma_f32 v114, 0x3f3bfb3b, v128, -v114
	;; [unrolled: 1-line block ×4, first 2 shown]
	v_fmamk_f32 v128, v137, 0x3eae86e6, v126
	v_fmamk_f32 v130, v55, 0x3eae86e6, v129
	v_fma_f32 v126, 0x3f5ff5aa, v138, -v126
	v_fma_f32 v129, 0x3f5ff5aa, v56, -v129
	;; [unrolled: 1-line block ×4, first 2 shown]
	v_add_f32_e32 v53, v132, v71
	v_add_f32_e32 v54, v133, v113
	v_fmamk_f32 v55, v69, 0x3d64c772, v67
	v_fma_f32 v69, 0x3f3bfb3b, v139, -v141
	v_fma_f32 v67, 0xbf3bfb3b, v139, -v67
	v_fmamk_f32 v132, v57, 0x3eae86e6, v143
	v_fmamk_f32 v133, v58, 0x3eae86e6, v144
	v_fma_f32 v138, 0xbeae86e6, v57, -v146
	v_fma_f32 v139, 0xbeae86e6, v58, -v147
	v_fmamk_f32 v57, v65, 0xbf955555, v51
	v_fmamk_f32 v58, v66, 0xbf955555, v52
	v_fma_f32 v137, 0x3f5ff5aa, v60, -v144
	v_fmamk_f32 v56, v70, 0x3d64c772, v68
	v_fma_f32 v70, 0x3f3bfb3b, v140, -v142
	v_fma_f32 v68, 0xbf3bfb3b, v140, -v68
	;; [unrolled: 1-line block ×3, first 2 shown]
	v_fmac_f32_e32 v128, 0x3ee1c552, v0
	v_fmac_f32_e32 v130, 0x3ee1c552, v1
	;; [unrolled: 1-line block ×6, first 2 shown]
	v_fmamk_f32 v0, v71, 0xbf955555, v53
	v_fmamk_f32 v1, v113, 0xbf955555, v54
	v_add_f32_e32 v65, v59, v57
	v_add_f32_e32 v66, v64, v58
	;; [unrolled: 1-line block ×4, first 2 shown]
	v_fmac_f32_e32 v133, 0x3ee1c552, v61
	v_fmac_f32_e32 v137, 0x3ee1c552, v61
	;; [unrolled: 1-line block ×3, first 2 shown]
	v_add_f32_e32 v61, v63, v57
	v_add_f32_e32 v63, v114, v58
	v_fmac_f32_e32 v132, 0x3ee1c552, v136
	v_fmac_f32_e32 v135, 0x3ee1c552, v136
	;; [unrolled: 1-line block ×3, first 2 shown]
	v_add_f32_e32 v136, v55, v0
	v_add_f32_e32 v140, v56, v1
	;; [unrolled: 1-line block ×7, first 2 shown]
	v_sub_f32_e32 v56, v66, v128
	v_add_f32_e32 v57, v134, v64
	v_sub_f32_e32 v58, v71, v131
	v_sub_f32_e32 v59, v61, v129
	v_add_f32_e32 v60, v126, v63
	v_add_f32_e32 v61, v129, v61
	v_sub_f32_e32 v62, v63, v126
	v_sub_f32_e32 v63, v64, v134
	v_add_f32_e32 v64, v131, v71
	v_sub_f32_e32 v65, v65, v130
	v_add_f32_e32 v66, v128, v66
	v_add_f32_e32 v67, v133, v136
	v_sub_f32_e32 v68, v140, v132
	v_add_f32_e32 v69, v139, v0
	v_sub_f32_e32 v70, v1, v138
	v_sub_f32_e32 v113, v127, v137
	v_add_f32_e32 v114, v135, v141
	v_add_f32_e32 v126, v137, v127
	v_sub_f32_e32 v127, v141, v135
	v_sub_f32_e32 v128, v0, v139
	v_add_f32_e32 v129, v138, v1
	v_sub_f32_e32 v0, v136, v133
	v_add_f32_e32 v1, v132, v140
	ds_write2_b64 v118, v[55:56], v[57:58] offset0:26 offset1:52
	ds_write2_b64 v118, v[59:60], v[61:62] offset0:78 offset1:104
	;; [unrolled: 1-line block ×3, first 2 shown]
	ds_write2_b64 v118, v[51:52], v[53:54] offset1:13
	ds_write2_b64 v125, v[67:68], v[69:70] offset0:39 offset1:65
	ds_write2_b64 v125, v[113:114], v[126:127] offset0:91 offset1:117
	;; [unrolled: 1-line block ×3, first 2 shown]
	s_waitcnt lgkmcnt(0)
	s_barrier
	buffer_gl0_inv
	s_clause 0xc
	global_load_dwordx2 v[113:114], v[48:49], off offset:1456
	global_load_dwordx2 v[126:127], v50, s[0:1] offset:112
	global_load_dwordx2 v[128:129], v50, s[0:1] offset:224
	;; [unrolled: 1-line block ×12, first 2 shown]
	ds_read2_b64 v[48:51], v118 offset1:14
	ds_read2_b64 v[52:55], v118 offset0:28 offset1:42
	ds_read2_b64 v[56:59], v118 offset0:56 offset1:70
	;; [unrolled: 1-line block ×5, first 2 shown]
	ds_read_b64 v[150:151], v118 offset:1344
	s_waitcnt vmcnt(12) lgkmcnt(6)
	v_mul_f32_e32 v152, v49, v114
	v_mul_f32_e32 v153, v48, v114
	s_waitcnt vmcnt(11)
	v_mul_f32_e32 v154, v51, v127
	v_mul_f32_e32 v114, v50, v127
	s_waitcnt vmcnt(10) lgkmcnt(5)
	v_mul_f32_e32 v155, v53, v129
	v_mul_f32_e32 v127, v52, v129
	s_waitcnt vmcnt(9)
	v_mul_f32_e32 v156, v55, v131
	v_mul_f32_e32 v129, v54, v131
	;; [unrolled: 6-line block ×6, first 2 shown]
	s_waitcnt vmcnt(0) lgkmcnt(0)
	v_mul_f32_e32 v165, v151, v149
	v_mul_f32_e32 v147, v150, v149
	v_fma_f32 v152, v48, v113, -v152
	v_fmac_f32_e32 v153, v49, v113
	v_fma_f32 v113, v50, v126, -v154
	v_fmac_f32_e32 v114, v51, v126
	;; [unrolled: 2-line block ×13, first 2 shown]
	ds_write2_b64 v118, v[152:153], v[113:114] offset1:14
	ds_write2_b64 v118, v[126:127], v[128:129] offset0:28 offset1:42
	ds_write2_b64 v118, v[130:131], v[132:133] offset0:56 offset1:70
	;; [unrolled: 1-line block ×5, first 2 shown]
	ds_write_b64 v118, v[146:147] offset:1344
	s_and_saveexec_b32 s0, vcc_lo
	s_cbranch_execz .LBB0_9
; %bb.8:
	ds_read2_b64 v[48:51], v115 offset0:13 offset1:27
	s_clause 0x1
	s_load_dwordx2 s[4:5], s[6:7], 0x618
	s_load_dwordx2 s[12:13], s[6:7], 0x688
	ds_read2_b64 v[52:55], v115 offset0:41 offset1:55
	s_clause 0x1
	s_load_dwordx2 s[14:15], s[6:7], 0x6f8
	s_load_dwordx2 s[16:17], s[6:7], 0x768
	ds_read2_b64 v[56:59], v115 offset0:69 offset1:83
	ds_read2_b64 v[60:63], v115 offset0:97 offset1:111
	s_clause 0x1
	s_load_dwordx2 s[18:19], s[6:7], 0x7d8
	s_load_dwordx2 s[20:21], s[6:7], 0x848
	s_waitcnt lgkmcnt(0)
	v_mul_f32_e32 v64, s5, v49
	v_mul_f32_e32 v65, s5, v48
	;; [unrolled: 1-line block ×8, first 2 shown]
	v_fma_f32 v64, v48, s4, -v64
	v_fmac_f32_e32 v65, s4, v49
	s_load_dwordx2 s[4:5], s[6:7], 0x8b8
	v_fma_f32 v66, v50, s12, -v66
	v_fmac_f32_e32 v67, s12, v51
	s_load_dwordx2 s[12:13], s[6:7], 0x928
	v_fma_f32 v68, v52, s14, -v68
	v_fmac_f32_e32 v69, s14, v53
	v_fma_f32 v70, v54, s16, -v70
	v_fmac_f32_e32 v71, s16, v55
	v_mul_f32_e32 v48, s19, v57
	ds_write2_b64 v115, v[64:65], v[66:67] offset0:13 offset1:27
	ds_write2_b64 v115, v[68:69], v[70:71] offset0:41 offset1:55
	v_mul_f32_e32 v65, s19, v56
	v_fma_f32 v64, v56, s18, -v48
	ds_read2_b64 v[48:51], v115 offset0:125 offset1:139
	s_clause 0x2
	s_load_dwordx2 s[14:15], s[6:7], 0x998
	s_load_dwordx2 s[16:17], s[6:7], 0xa08
	;; [unrolled: 1-line block ×3, first 2 shown]
	ds_read2_b64 v[52:55], v115 offset0:153 offset1:167
	v_fmac_f32_e32 v65, s18, v57
	s_load_dwordx2 s[18:19], s[6:7], 0xae8
	ds_read_b64 v[68:69], v115 offset:1448
	s_load_dwordx2 s[24:25], s[6:7], 0xb58
	v_mul_f32_e32 v56, s21, v59
	v_mul_f32_e32 v57, s21, v58
	s_waitcnt lgkmcnt(0)
	v_mul_f32_e32 v67, s5, v60
	v_mul_f32_e32 v70, s13, v63
	;; [unrolled: 1-line block ×3, first 2 shown]
	v_fma_f32 v56, v58, s20, -v56
	v_mul_f32_e32 v58, s5, v61
	v_fmac_f32_e32 v57, s20, v59
	v_fmac_f32_e32 v67, s4, v61
	v_fma_f32 v70, v62, s12, -v70
	v_fmac_f32_e32 v71, s12, v63
	v_fma_f32 v66, v60, s4, -v58
	v_mul_f32_e32 v59, s15, v48
	v_mul_f32_e32 v60, s17, v51
	;; [unrolled: 1-line block ×5, first 2 shown]
	v_fmac_f32_e32 v59, s14, v49
	v_fma_f32 v60, v50, s16, -v60
	v_fmac_f32_e32 v61, s16, v51
	v_mul_f32_e32 v49, s23, v52
	v_mul_f32_e32 v50, s19, v55
	;; [unrolled: 1-line block ×3, first 2 shown]
	v_fma_f32 v58, v48, s14, -v58
	v_fma_f32 v48, v52, s22, -v62
	v_mul_f32_e32 v52, s25, v69
	v_mul_f32_e32 v63, s25, v68
	v_fmac_f32_e32 v49, s22, v53
	v_fma_f32 v50, v54, s18, -v50
	v_fmac_f32_e32 v51, s18, v55
	v_fma_f32 v62, v68, s24, -v52
	v_fmac_f32_e32 v63, s24, v69
	ds_write2_b64 v115, v[64:65], v[56:57] offset0:69 offset1:83
	ds_write2_b64 v115, v[66:67], v[70:71] offset0:97 offset1:111
	;; [unrolled: 1-line block ×4, first 2 shown]
	ds_write_b64 v115, v[62:63] offset:1448
.LBB0_9:
	s_or_b32 exec_lo, exec_lo, s0
	s_waitcnt lgkmcnt(0)
	s_barrier
	buffer_gl0_inv
	ds_read2_b64 v[68:71], v118 offset1:14
	ds_read2_b64 v[60:63], v118 offset0:28 offset1:42
	ds_read2_b64 v[52:55], v118 offset0:56 offset1:70
	;; [unrolled: 1-line block ×5, first 2 shown]
	ds_read_b64 v[113:114], v118 offset:1344
	s_and_saveexec_b32 s0, vcc_lo
	s_cbranch_execz .LBB0_11
; %bb.10:
	ds_read2_b64 v[0:3], v115 offset0:13 offset1:27
	ds_read2_b64 v[4:7], v115 offset0:41 offset1:55
	;; [unrolled: 1-line block ×6, first 2 shown]
	ds_read_b64 v[99:100], v115 offset:1448
.LBB0_11:
	s_or_b32 exec_lo, exec_lo, s0
	s_waitcnt lgkmcnt(6)
	v_add_f32_e32 v127, v69, v71
	v_add_f32_e32 v126, v68, v70
	s_waitcnt lgkmcnt(0)
	v_sub_f32_e32 v129, v71, v114
	v_add_f32_e32 v130, v114, v71
	v_add_f32_e32 v128, v113, v70
	;; [unrolled: 1-line block ×4, first 2 shown]
	v_sub_f32_e32 v131, v70, v113
	v_sub_f32_e32 v149, v61, v67
	v_mul_f32_e32 v132, 0xbf52af12, v129
	v_add_f32_e32 v71, v127, v63
	v_add_f32_e32 v70, v126, v62
	v_mul_f32_e32 v126, 0xbeedf032, v129
	v_mul_f32_e32 v127, 0x3f62ad3f, v130
	;; [unrolled: 1-line block ×3, first 2 shown]
	v_add_f32_e32 v71, v71, v53
	v_add_f32_e32 v70, v70, v52
	v_mul_f32_e32 v134, 0xbf7e222b, v129
	v_mul_f32_e32 v135, 0x3df6dbef, v130
	v_mul_f32_e32 v136, 0xbf6f5d39, v129
	v_add_f32_e32 v71, v71, v55
	v_add_f32_e32 v70, v70, v54
	v_fmamk_f32 v137, v128, 0x3f62ad3f, v126
	v_mul_f32_e32 v144, 0xbf29c268, v129
	v_mul_f32_e32 v145, 0xbf3f9e67, v130
	v_add_f32_e32 v71, v71, v49
	v_add_f32_e32 v70, v70, v48
	v_mul_f32_e32 v129, 0xbe750f2a, v129
	v_add_f32_e32 v151, v66, v60
	v_mul_f32_e32 v152, 0xbf52af12, v149
	v_add_f32_e32 v71, v71, v51
	v_add_f32_e32 v70, v70, v50
	;; [unrolled: 1-line block ×3, first 2 shown]
	v_fmamk_f32 v138, v131, 0x3eedf032, v127
	v_fma_f32 v126, 0x3f62ad3f, v128, -v126
	v_add_f32_e32 v71, v71, v57
	v_add_f32_e32 v70, v70, v56
	v_fmac_f32_e32 v127, 0xbeedf032, v131
	v_fmamk_f32 v139, v128, 0x3f116cb1, v132
	v_fmamk_f32 v140, v131, 0x3f52af12, v133
	v_add_f32_e32 v71, v71, v59
	v_add_f32_e32 v70, v70, v58
	v_fma_f32 v132, 0x3f116cb1, v128, -v132
	v_fmac_f32_e32 v133, 0xbf52af12, v131
	v_fmamk_f32 v141, v128, 0x3df6dbef, v134
	v_add_f32_e32 v71, v71, v65
	v_add_f32_e32 v70, v70, v64
	v_fmamk_f32 v142, v131, 0x3f7e222b, v135
	v_fma_f32 v134, 0x3df6dbef, v128, -v134
	v_add_f32_e32 v137, v68, v137
	v_add_f32_e32 v71, v71, v67
	;; [unrolled: 1-line block ×3, first 2 shown]
	v_fmac_f32_e32 v135, 0xbf7e222b, v131
	v_fmamk_f32 v146, v128, 0xbf3f9e67, v144
	v_fmamk_f32 v147, v131, 0x3f29c268, v145
	v_add_f32_e32 v71, v71, v114
	v_mul_f32_e32 v114, 0xbeb58ec6, v130
	v_mul_f32_e32 v130, 0xbf788fa5, v130
	v_add_f32_e32 v70, v70, v113
	v_fmamk_f32 v113, v128, 0xbeb58ec6, v136
	v_fma_f32 v136, 0xbeb58ec6, v128, -v136
	v_fmamk_f32 v143, v131, 0x3f6f5d39, v114
	v_fmac_f32_e32 v114, 0xbf6f5d39, v131
	v_fma_f32 v144, 0xbf3f9e67, v128, -v144
	v_fmac_f32_e32 v145, 0xbf29c268, v131
	v_fmamk_f32 v148, v128, 0xbf788fa5, v129
	v_fmamk_f32 v150, v131, 0x3e750f2a, v130
	v_fma_f32 v67, 0xbf788fa5, v128, -v129
	v_fmac_f32_e32 v130, 0xbe750f2a, v131
	v_sub_f32_e32 v60, v60, v66
	v_fmamk_f32 v66, v151, 0x3f116cb1, v152
	v_mul_f32_e32 v128, 0x3f116cb1, v61
	v_add_f32_e32 v138, v69, v138
	v_add_f32_e32 v126, v68, v126
	;; [unrolled: 1-line block ×24, first 2 shown]
	v_fmamk_f32 v69, v60, 0x3f52af12, v128
	v_mul_f32_e32 v130, 0xbf6f5d39, v149
	v_fma_f32 v131, 0x3f116cb1, v151, -v152
	v_fmac_f32_e32 v128, 0xbf52af12, v60
	v_mul_f32_e32 v137, 0xbeb58ec6, v61
	v_add_f32_e32 v69, v69, v138
	v_fmamk_f32 v138, v151, 0xbeb58ec6, v130
	v_add_f32_e32 v126, v131, v126
	v_add_f32_e32 v127, v128, v127
	v_fmamk_f32 v128, v60, 0x3f6f5d39, v137
	v_mul_f32_e32 v131, 0xbe750f2a, v149
	v_add_f32_e32 v138, v138, v139
	v_fma_f32 v130, 0xbeb58ec6, v151, -v130
	v_fmac_f32_e32 v137, 0xbf6f5d39, v60
	v_add_f32_e32 v128, v128, v140
	v_fmamk_f32 v139, v151, 0xbf788fa5, v131
	v_mul_f32_e32 v140, 0xbf788fa5, v61
	v_add_f32_e32 v130, v130, v132
	v_add_f32_e32 v132, v137, v133
	v_mul_f32_e32 v133, 0x3f29c268, v149
	v_add_f32_e32 v137, v139, v141
	v_fmamk_f32 v139, v60, 0x3e750f2a, v140
	v_fma_f32 v131, 0xbf788fa5, v151, -v131
	v_fmac_f32_e32 v140, 0xbe750f2a, v60
	v_mul_f32_e32 v150, 0xbf3f9e67, v61
	v_fmamk_f32 v141, v151, 0xbf3f9e67, v133
	v_add_f32_e32 v139, v139, v142
	v_add_f32_e32 v131, v131, v134
	;; [unrolled: 1-line block ×3, first 2 shown]
	v_fmamk_f32 v135, v60, 0xbf29c268, v150
	v_mul_f32_e32 v140, 0x3f7e222b, v149
	v_add_f32_e32 v113, v141, v113
	v_fma_f32 v133, 0xbf3f9e67, v151, -v133
	v_mul_f32_e32 v141, 0x3df6dbef, v61
	v_add_f32_e32 v135, v135, v143
	v_fmamk_f32 v142, v151, 0x3df6dbef, v140
	v_mul_f32_e32 v143, 0x3eedf032, v149
	v_fma_f32 v140, 0x3df6dbef, v151, -v140
	v_add_f32_e32 v133, v133, v136
	v_fmamk_f32 v136, v60, 0xbf7e222b, v141
	v_add_f32_e32 v142, v142, v146
	v_fmac_f32_e32 v141, 0x3f7e222b, v60
	v_fmamk_f32 v146, v151, 0x3f62ad3f, v143
	v_add_f32_e32 v140, v140, v144
	v_sub_f32_e32 v144, v63, v65
	v_add_f32_e32 v136, v136, v147
	v_mul_f32_e32 v61, 0x3f62ad3f, v61
	v_add_f32_e32 v141, v141, v145
	v_add_f32_e32 v145, v146, v148
	;; [unrolled: 1-line block ×3, first 2 shown]
	v_mul_f32_e32 v148, 0xbf7e222b, v144
	v_add_f32_e32 v63, v65, v63
	v_fmac_f32_e32 v150, 0x3f29c268, v60
	v_fmamk_f32 v146, v60, 0xbeedf032, v61
	v_fma_f32 v65, 0x3f62ad3f, v151, -v143
	v_fmac_f32_e32 v61, 0x3eedf032, v60
	v_sub_f32_e32 v60, v62, v64
	v_fmamk_f32 v62, v147, 0x3df6dbef, v148
	v_mul_f32_e32 v64, 0x3df6dbef, v63
	v_add_f32_e32 v65, v65, v67
	v_add_f32_e32 v61, v61, v68
	v_mul_f32_e32 v67, 0xbe750f2a, v144
	v_add_f32_e32 v62, v62, v66
	v_fmamk_f32 v66, v60, 0x3f7e222b, v64
	v_fma_f32 v68, 0x3df6dbef, v147, -v148
	v_fmac_f32_e32 v64, 0xbf7e222b, v60
	v_mul_f32_e32 v143, 0xbf788fa5, v63
	v_add_f32_e32 v129, v146, v129
	v_add_f32_e32 v66, v66, v69
	v_fmamk_f32 v69, v147, 0xbf788fa5, v67
	v_add_f32_e32 v68, v68, v126
	v_add_f32_e32 v64, v64, v127
	v_fmamk_f32 v126, v60, 0x3e750f2a, v143
	v_mul_f32_e32 v127, 0x3f6f5d39, v144
	v_add_f32_e32 v69, v69, v138
	v_mul_f32_e32 v138, 0xbeb58ec6, v63
	v_mul_f32_e32 v146, 0x3f62ad3f, v63
	v_add_f32_e32 v126, v126, v128
	v_fmamk_f32 v128, v147, 0xbeb58ec6, v127
	v_fma_f32 v127, 0xbeb58ec6, v147, -v127
	v_fma_f32 v67, 0xbf788fa5, v147, -v67
	v_fmac_f32_e32 v143, 0xbe750f2a, v60
	v_add_f32_e32 v114, v150, v114
	v_add_f32_e32 v128, v128, v137
	v_fmamk_f32 v137, v60, 0xbf6f5d39, v138
	v_fmac_f32_e32 v138, 0x3f6f5d39, v60
	v_add_f32_e32 v127, v127, v131
	v_add_f32_e32 v67, v67, v130
	;; [unrolled: 1-line block ×3, first 2 shown]
	v_mul_f32_e32 v132, 0x3eedf032, v144
	v_add_f32_e32 v131, v138, v134
	v_fmamk_f32 v134, v60, 0xbeedf032, v146
	v_mul_f32_e32 v138, 0xbf52af12, v144
	v_add_f32_e32 v137, v137, v139
	v_fmamk_f32 v143, v147, 0x3f62ad3f, v132
	v_fma_f32 v132, 0x3f62ad3f, v147, -v132
	v_add_f32_e32 v134, v134, v135
	v_fmamk_f32 v135, v147, 0x3f116cb1, v138
	v_fma_f32 v138, 0x3f116cb1, v147, -v138
	v_mul_f32_e32 v139, 0x3f116cb1, v63
	v_add_f32_e32 v113, v143, v113
	v_add_f32_e32 v132, v132, v133
	v_mul_f32_e32 v143, 0xbf29c268, v144
	v_add_f32_e32 v138, v138, v140
	v_sub_f32_e32 v140, v53, v59
	v_fmamk_f32 v133, v60, 0x3f52af12, v139
	v_add_f32_e32 v135, v135, v142
	v_fmac_f32_e32 v139, 0xbf52af12, v60
	v_mul_f32_e32 v63, 0xbf3f9e67, v63
	v_add_f32_e32 v142, v58, v52
	v_mul_f32_e32 v144, 0xbf6f5d39, v140
	v_add_f32_e32 v53, v59, v53
	v_fmac_f32_e32 v146, 0x3eedf032, v60
	v_add_f32_e32 v139, v139, v141
	v_fmamk_f32 v141, v60, 0x3f29c268, v63
	v_fma_f32 v59, 0xbf3f9e67, v147, -v143
	v_fmac_f32_e32 v63, 0xbf29c268, v60
	v_sub_f32_e32 v52, v52, v58
	v_fmamk_f32 v58, v142, 0xbeb58ec6, v144
	v_mul_f32_e32 v60, 0xbeb58ec6, v53
	v_add_f32_e32 v129, v141, v129
	v_add_f32_e32 v59, v59, v65
	;; [unrolled: 1-line block ×4, first 2 shown]
	v_fmamk_f32 v62, v52, 0x3f6f5d39, v60
	v_mul_f32_e32 v63, 0x3f29c268, v140
	v_fma_f32 v65, 0xbeb58ec6, v142, -v144
	v_fmac_f32_e32 v60, 0xbf6f5d39, v52
	v_mul_f32_e32 v141, 0xbf3f9e67, v53
	v_add_f32_e32 v62, v62, v66
	v_fmamk_f32 v66, v142, 0xbf3f9e67, v63
	v_add_f32_e32 v65, v65, v68
	v_add_f32_e32 v60, v60, v64
	v_fmamk_f32 v64, v52, 0xbf29c268, v141
	v_mul_f32_e32 v68, 0x3eedf032, v140
	v_add_f32_e32 v66, v66, v69
	v_add_f32_e32 v133, v133, v136
	v_fmamk_f32 v136, v147, 0xbf3f9e67, v143
	v_add_f32_e32 v64, v64, v126
	v_fmamk_f32 v69, v142, 0x3f62ad3f, v68
	v_mul_f32_e32 v126, 0x3f62ad3f, v53
	v_fma_f32 v63, 0xbf3f9e67, v142, -v63
	v_fmac_f32_e32 v141, 0x3f29c268, v52
	v_fma_f32 v68, 0x3f62ad3f, v142, -v68
	v_add_f32_e32 v69, v69, v128
	v_fmamk_f32 v128, v52, 0xbeedf032, v126
	v_fmac_f32_e32 v126, 0x3eedf032, v52
	v_mul_f32_e32 v143, 0x3df6dbef, v53
	v_add_f32_e32 v63, v63, v67
	v_add_f32_e32 v67, v141, v130
	v_mul_f32_e32 v130, 0xbf7e222b, v140
	v_add_f32_e32 v68, v68, v127
	v_add_f32_e32 v126, v126, v131
	v_fmamk_f32 v127, v52, 0x3f7e222b, v143
	v_mul_f32_e32 v131, 0x3e750f2a, v140
	v_fmamk_f32 v141, v142, 0x3df6dbef, v130
	v_add_f32_e32 v128, v128, v137
	v_fma_f32 v130, 0x3df6dbef, v142, -v130
	v_mul_f32_e32 v137, 0xbf788fa5, v53
	v_add_f32_e32 v127, v127, v134
	v_fmamk_f32 v134, v142, 0xbf788fa5, v131
	v_mul_f32_e32 v140, 0x3f52af12, v140
	v_add_f32_e32 v130, v130, v132
	v_fmamk_f32 v132, v52, 0xbe750f2a, v137
	v_fma_f32 v131, 0xbf788fa5, v142, -v131
	v_add_f32_e32 v134, v134, v135
	v_fmac_f32_e32 v137, 0x3e750f2a, v52
	v_sub_f32_e32 v135, v55, v57
	v_add_f32_e32 v136, v136, v145
	v_add_f32_e32 v132, v132, v133
	v_fmamk_f32 v133, v142, 0x3f116cb1, v140
	v_mul_f32_e32 v53, 0x3f116cb1, v53
	v_add_f32_e32 v131, v131, v138
	v_add_f32_e32 v137, v137, v139
	;; [unrolled: 1-line block ×3, first 2 shown]
	v_mul_f32_e32 v139, 0xbf29c268, v135
	v_add_f32_e32 v55, v57, v55
	v_fmac_f32_e32 v143, 0xbf7e222b, v52
	v_add_f32_e32 v133, v133, v136
	v_fmamk_f32 v136, v52, 0xbf52af12, v53
	v_fma_f32 v57, 0x3f116cb1, v142, -v140
	v_fmac_f32_e32 v53, 0x3f52af12, v52
	v_sub_f32_e32 v52, v54, v56
	v_fmamk_f32 v54, v138, 0xbf3f9e67, v139
	v_mul_f32_e32 v56, 0xbf3f9e67, v55
	v_add_f32_e32 v129, v136, v129
	v_add_f32_e32 v57, v57, v59
	;; [unrolled: 1-line block ×4, first 2 shown]
	v_fmamk_f32 v58, v52, 0x3f29c268, v56
	v_mul_f32_e32 v59, 0x3f7e222b, v135
	v_fma_f32 v61, 0xbf3f9e67, v138, -v139
	v_fmac_f32_e32 v56, 0xbf29c268, v52
	v_mul_f32_e32 v136, 0x3df6dbef, v55
	v_add_f32_e32 v58, v58, v62
	v_fmamk_f32 v62, v138, 0x3df6dbef, v59
	v_add_f32_e32 v61, v61, v65
	v_add_f32_e32 v56, v56, v60
	v_fmamk_f32 v60, v52, 0xbf7e222b, v136
	v_mul_f32_e32 v65, 0xbf52af12, v135
	v_fma_f32 v59, 0x3df6dbef, v138, -v59
	v_fmac_f32_e32 v136, 0x3f7e222b, v52
	v_add_f32_e32 v62, v62, v66
	v_add_f32_e32 v60, v60, v64
	v_fmamk_f32 v64, v138, 0x3f116cb1, v65
	v_mul_f32_e32 v66, 0x3f116cb1, v55
	v_add_f32_e32 v59, v59, v63
	v_add_f32_e32 v63, v136, v67
	v_mul_f32_e32 v67, 0x3e750f2a, v135
	v_add_f32_e32 v113, v141, v113
	v_add_f32_e32 v64, v64, v69
	v_fmamk_f32 v69, v52, 0x3f52af12, v66
	v_fma_f32 v65, 0x3f116cb1, v138, -v65
	v_fmac_f32_e32 v66, 0xbf52af12, v52
	v_fmamk_f32 v136, v138, 0xbf788fa5, v67
	v_mul_f32_e32 v139, 0xbf788fa5, v55
	v_add_f32_e32 v69, v69, v128
	v_add_f32_e32 v65, v65, v68
	;; [unrolled: 1-line block ×4, first 2 shown]
	v_fmamk_f32 v113, v52, 0xbe750f2a, v139
	v_mul_f32_e32 v126, 0x3eedf032, v135
	v_fma_f32 v67, 0xbf788fa5, v138, -v67
	v_mul_f32_e32 v128, 0x3f62ad3f, v55
	v_mul_f32_e32 v135, 0xbf6f5d39, v135
	v_add_f32_e32 v113, v113, v127
	v_fmamk_f32 v127, v138, 0x3f62ad3f, v126
	v_add_f32_e32 v67, v67, v130
	v_fmamk_f32 v130, v52, 0xbeedf032, v128
	v_fma_f32 v126, 0x3f62ad3f, v138, -v126
	v_fmac_f32_e32 v128, 0x3eedf032, v52
	v_mul_f32_e32 v55, 0xbeb58ec6, v55
	v_add_f32_e32 v127, v127, v134
	v_add_f32_e32 v130, v130, v132
	v_fmamk_f32 v132, v138, 0xbeb58ec6, v135
	v_add_f32_e32 v126, v126, v131
	v_sub_f32_e32 v131, v49, v51
	v_add_f32_e32 v128, v128, v137
	v_add_f32_e32 v134, v50, v48
	;; [unrolled: 1-line block ×3, first 2 shown]
	v_fmamk_f32 v133, v52, 0x3f6f5d39, v55
	v_mul_f32_e32 v136, 0xbe750f2a, v131
	v_add_f32_e32 v137, v51, v49
	v_fmac_f32_e32 v55, 0xbf6f5d39, v52
	v_fma_f32 v49, 0xbeb58ec6, v138, -v135
	v_sub_f32_e32 v135, v48, v50
	v_fmamk_f32 v48, v134, 0xbf788fa5, v136
	v_mul_f32_e32 v51, 0xbf788fa5, v137
	v_add_f32_e32 v138, v55, v53
	v_mul_f32_e32 v55, 0x3f62ad3f, v137
	v_add_f32_e32 v129, v133, v129
	v_add_f32_e32 v133, v49, v57
	;; [unrolled: 1-line block ×3, first 2 shown]
	v_fmamk_f32 v49, v135, 0x3e750f2a, v51
	v_mul_f32_e32 v53, 0x3eedf032, v131
	v_fma_f32 v50, 0xbf788fa5, v134, -v136
	v_fmac_f32_e32 v51, 0xbe750f2a, v135
	v_fmamk_f32 v54, v135, 0xbeedf032, v55
	v_mul_f32_e32 v57, 0xbf29c268, v131
	v_add_f32_e32 v114, v146, v114
	v_fmac_f32_e32 v139, 0x3e750f2a, v52
	v_add_f32_e32 v49, v49, v58
	v_fmamk_f32 v52, v134, 0x3f62ad3f, v53
	v_add_f32_e32 v50, v50, v61
	v_add_f32_e32 v51, v51, v56
	v_fma_f32 v56, 0x3f62ad3f, v134, -v53
	v_fmac_f32_e32 v55, 0x3eedf032, v135
	v_add_f32_e32 v53, v54, v60
	v_fmamk_f32 v58, v134, 0xbf3f9e67, v57
	v_mul_f32_e32 v60, 0xbf3f9e67, v137
	v_mul_f32_e32 v61, 0x3f52af12, v131
	v_add_f32_e32 v114, v143, v114
	v_add_f32_e32 v52, v52, v62
	;; [unrolled: 1-line block ×5, first 2 shown]
	v_fmamk_f32 v58, v135, 0x3f29c268, v60
	v_fma_f32 v59, 0xbf3f9e67, v134, -v57
	v_fmac_f32_e32 v60, 0xbf29c268, v135
	v_fmamk_f32 v62, v134, 0x3f116cb1, v61
	v_mul_f32_e32 v63, 0x3f116cb1, v137
	v_add_f32_e32 v114, v139, v114
	v_add_f32_e32 v57, v58, v69
	;; [unrolled: 1-line block ×5, first 2 shown]
	v_fmamk_f32 v62, v135, 0xbf52af12, v63
	v_mul_f32_e32 v64, 0xbf6f5d39, v131
	v_fma_f32 v65, 0x3f116cb1, v134, -v61
	v_fmac_f32_e32 v63, 0x3f52af12, v135
	v_mul_f32_e32 v68, 0xbeb58ec6, v137
	v_add_f32_e32 v61, v62, v113
	v_fmamk_f32 v66, v134, 0xbeb58ec6, v64
	v_add_f32_e32 v62, v65, v67
	v_add_f32_e32 v63, v63, v114
	v_fma_f32 v67, 0xbeb58ec6, v134, -v64
	v_mul_f32_e32 v69, 0x3f7e222b, v131
	v_mul_f32_e32 v114, 0x3df6dbef, v137
	v_fmamk_f32 v65, v135, 0x3f6f5d39, v68
	v_add_f32_e32 v64, v66, v127
	v_add_f32_e32 v66, v67, v126
	v_fmac_f32_e32 v68, 0xbf6f5d39, v135
	v_fmamk_f32 v113, v134, 0x3df6dbef, v69
	v_fmamk_f32 v126, v135, 0xbf7e222b, v114
	v_fma_f32 v127, 0x3df6dbef, v134, -v69
	v_fmac_f32_e32 v114, 0x3f7e222b, v135
	v_add_nc_u32_e32 v125, 0x68, v125
	v_add_f32_e32 v65, v65, v130
	v_add_f32_e32 v67, v68, v128
	;; [unrolled: 1-line block ×6, first 2 shown]
	s_barrier
	buffer_gl0_inv
	ds_write2_b64 v124, v[70:71], v[48:49] offset1:1
	ds_write2_b64 v124, v[52:53], v[56:57] offset0:2 offset1:3
	ds_write2_b64 v124, v[60:61], v[64:65] offset0:4 offset1:5
	;; [unrolled: 1-line block ×5, first 2 shown]
	ds_write_b64 v124, v[50:51] offset:96
	s_and_saveexec_b32 s0, vcc_lo
	s_cbranch_execz .LBB0_13
; %bb.12:
	v_add_f32_e32 v68, v100, v3
	v_sub_f32_e32 v56, v2, v99
	v_add_f32_e32 v69, v11, v5
	v_sub_f32_e32 v53, v4, v10
	v_add_f32_e32 v70, v9, v7
	v_mul_f32_e32 v71, 0xbf788fa5, v68
	v_sub_f32_e32 v54, v6, v8
	v_mul_f32_e32 v114, 0x3f62ad3f, v69
	v_add_f32_e32 v113, v19, v13
	v_mul_f32_e32 v126, 0xbf3f9e67, v70
	v_fmamk_f32 v48, v56, 0x3e750f2a, v71
	v_sub_f32_e32 v127, v3, v100
	v_fmamk_f32 v49, v53, 0xbeedf032, v114
	v_sub_f32_e32 v52, v12, v18
	v_add_f32_e32 v57, v99, v2
	v_add_f32_e32 v48, v1, v48
	v_mul_f32_e32 v128, 0x3f116cb1, v113
	v_fmamk_f32 v50, v54, 0x3f29c268, v126
	v_mul_f32_e32 v129, 0xbe750f2a, v127
	v_sub_f32_e32 v130, v5, v11
	v_add_f32_e32 v48, v49, v48
	v_add_f32_e32 v58, v10, v4
	v_fmamk_f32 v49, v52, 0xbf52af12, v128
	v_sub_f32_e32 v132, v7, v9
	v_mul_f32_e32 v131, 0x3eedf032, v130
	v_add_f32_e32 v48, v50, v48
	v_fmamk_f32 v50, v57, 0xbf788fa5, v129
	v_add_f32_e32 v124, v17, v15
	v_add_f32_e32 v59, v8, v6
	v_mul_f32_e32 v134, 0xbf29c268, v132
	v_add_f32_e32 v48, v49, v48
	v_add_f32_e32 v49, v0, v50
	v_fmamk_f32 v50, v58, 0x3f62ad3f, v131
	v_sub_f32_e32 v135, v13, v19
	v_sub_f32_e32 v55, v14, v16
	v_mul_f32_e32 v133, 0xbeb58ec6, v124
	v_add_f32_e32 v136, v47, v45
	v_add_f32_e32 v49, v50, v49
	v_fmamk_f32 v50, v59, 0xbf3f9e67, v134
	v_add_f32_e32 v61, v18, v12
	v_mul_f32_e32 v137, 0x3f52af12, v135
	v_sub_f32_e32 v139, v15, v17
	v_fmamk_f32 v51, v55, 0x3f6f5d39, v133
	v_mul_f32_e32 v138, 0x3df6dbef, v136
	v_sub_f32_e32 v60, v44, v46
	v_add_f32_e32 v49, v50, v49
	v_fmamk_f32 v50, v61, 0x3f116cb1, v137
	v_add_f32_e32 v62, v16, v14
	v_mul_f32_e32 v140, 0xbf6f5d39, v139
	v_mul_f32_e32 v141, 0xbf3f9e67, v68
	v_add_f32_e32 v48, v51, v48
	v_fmamk_f32 v51, v60, 0xbf7e222b, v138
	v_add_f32_e32 v50, v50, v49
	v_fmamk_f32 v63, v62, 0xbeb58ec6, v140
	v_fmamk_f32 v64, v56, 0x3f29c268, v141
	v_mul_f32_e32 v142, 0x3df6dbef, v69
	v_add_f32_e32 v49, v51, v48
	v_sub_f32_e32 v143, v45, v47
	v_add_f32_e32 v48, v63, v50
	v_add_f32_e32 v50, v1, v64
	v_fmamk_f32 v51, v53, 0xbf7e222b, v142
	v_mul_f32_e32 v144, 0x3f116cb1, v70
	v_mul_f32_e32 v146, 0xbf29c268, v127
	v_add_f32_e32 v63, v46, v44
	v_mul_f32_e32 v145, 0x3f7e222b, v143
	v_add_f32_e32 v50, v51, v50
	v_fmamk_f32 v51, v54, 0x3f52af12, v144
	v_mul_f32_e32 v147, 0xbf788fa5, v113
	v_fmamk_f32 v65, v57, 0xbf3f9e67, v146
	v_mul_f32_e32 v148, 0x3f7e222b, v130
	v_fmamk_f32 v64, v63, 0x3df6dbef, v145
	v_add_f32_e32 v50, v51, v50
	v_fmamk_f32 v51, v52, 0xbe750f2a, v147
	v_mul_f32_e32 v149, 0x3f62ad3f, v124
	v_add_f32_e32 v65, v0, v65
	v_fmamk_f32 v66, v58, 0x3df6dbef, v148
	v_mul_f32_e32 v150, 0xbf52af12, v132
	v_add_f32_e32 v50, v51, v50
	v_fmamk_f32 v51, v55, 0xbeedf032, v149
	v_add_f32_e32 v48, v64, v48
	v_add_f32_e32 v64, v66, v65
	v_fmamk_f32 v65, v59, 0x3f116cb1, v150
	v_mul_f32_e32 v151, 0x3e750f2a, v135
	v_mul_f32_e32 v152, 0xbeb58ec6, v136
	;; [unrolled: 1-line block ×3, first 2 shown]
	v_add_f32_e32 v50, v51, v50
	v_add_f32_e32 v51, v65, v64
	v_fmamk_f32 v64, v61, 0xbf788fa5, v151
	v_fmamk_f32 v65, v60, 0x3f6f5d39, v152
	;; [unrolled: 1-line block ×3, first 2 shown]
	v_mul_f32_e32 v155, 0xbf3f9e67, v69
	v_mul_f32_e32 v154, 0x3eedf032, v139
	v_add_f32_e32 v64, v64, v51
	v_add_f32_e32 v51, v65, v50
	v_add_f32_e32 v50, v1, v66
	v_fmamk_f32 v65, v53, 0xbf29c268, v155
	v_mul_f32_e32 v156, 0x3f62ad3f, v70
	v_fmamk_f32 v67, v62, 0x3f62ad3f, v154
	v_mul_f32_e32 v158, 0xbf6f5d39, v127
	v_mul_f32_e32 v159, 0x3df6dbef, v113
	v_add_f32_e32 v50, v65, v50
	v_fmamk_f32 v65, v54, 0xbeedf032, v156
	v_add_f32_e32 v64, v67, v64
	v_mul_f32_e32 v157, 0xbf6f5d39, v143
	v_fmamk_f32 v67, v57, 0xbeb58ec6, v158
	v_mul_f32_e32 v160, 0x3f29c268, v130
	v_add_f32_e32 v50, v65, v50
	v_fmamk_f32 v65, v52, 0x3f7e222b, v159
	v_mul_f32_e32 v161, 0xbf788fa5, v124
	v_fmamk_f32 v66, v63, 0xbeb58ec6, v157
	v_add_f32_e32 v67, v0, v67
	v_fmamk_f32 v162, v58, 0xbf3f9e67, v160
	v_mul_f32_e32 v163, 0x3eedf032, v132
	v_add_f32_e32 v65, v65, v50
	v_fmamk_f32 v164, v55, 0xbe750f2a, v161
	v_add_f32_e32 v50, v66, v64
	v_add_f32_e32 v64, v162, v67
	v_fmamk_f32 v66, v59, 0x3f62ad3f, v163
	v_mul_f32_e32 v162, 0xbf7e222b, v135
	v_add_f32_e32 v65, v164, v65
	v_mul_f32_e32 v164, 0x3f116cb1, v136
	v_mul_f32_e32 v165, 0x3df6dbef, v68
	v_add_f32_e32 v64, v66, v64
	v_fmamk_f32 v66, v61, 0x3df6dbef, v162
	v_mul_f32_e32 v166, 0x3e750f2a, v139
	v_fmamk_f32 v67, v60, 0xbf52af12, v164
	v_fmamk_f32 v167, v56, 0x3f7e222b, v165
	v_mul_f32_e32 v168, 0xbf788fa5, v69
	v_add_f32_e32 v64, v66, v64
	v_fmamk_f32 v66, v62, 0xbf788fa5, v166
	v_add_f32_e32 v65, v67, v65
	v_add_f32_e32 v67, v1, v167
	v_fmamk_f32 v167, v53, 0x3e750f2a, v168
	v_mul_f32_e32 v169, 0xbeb58ec6, v70
	v_mul_f32_e32 v171, 0xbf7e222b, v127
	v_add_f32_e32 v64, v66, v64
	v_mul_f32_e32 v170, 0x3f52af12, v143
	v_add_f32_e32 v66, v167, v67
	v_fmamk_f32 v67, v54, 0xbf6f5d39, v169
	v_mul_f32_e32 v167, 0x3f62ad3f, v113
	v_fmamk_f32 v173, v57, 0x3df6dbef, v171
	v_mul_f32_e32 v174, 0xbe750f2a, v130
	v_fmamk_f32 v172, v63, 0x3f116cb1, v170
	v_add_f32_e32 v66, v67, v66
	v_fmamk_f32 v67, v52, 0xbeedf032, v167
	v_mul_f32_e32 v175, 0x3f116cb1, v124
	v_add_f32_e32 v173, v0, v173
	v_fmamk_f32 v176, v58, 0xbf788fa5, v174
	v_mul_f32_e32 v177, 0x3f6f5d39, v132
	v_add_f32_e32 v66, v67, v66
	v_fmamk_f32 v67, v55, 0x3f52af12, v175
	v_add_f32_e32 v64, v172, v64
	v_add_f32_e32 v172, v176, v173
	v_fmamk_f32 v173, v59, 0xbeb58ec6, v177
	v_mul_f32_e32 v176, 0x3eedf032, v135
	v_mul_f32_e32 v178, 0x3f116cb1, v68
	v_add_f32_e32 v66, v67, v66
	v_mul_f32_e32 v179, 0xbf3f9e67, v136
	v_add_f32_e32 v67, v173, v172
	v_fmamk_f32 v172, v61, 0x3f62ad3f, v176
	v_mul_f32_e32 v173, 0xbf52af12, v139
	v_fmamk_f32 v180, v56, 0x3f52af12, v178
	v_mul_f32_e32 v181, 0xbeb58ec6, v69
	v_fmamk_f32 v182, v60, 0x3f29c268, v179
	v_add_f32_e32 v172, v172, v67
	v_fmamk_f32 v183, v62, 0x3f116cb1, v173
	v_add_f32_e32 v180, v1, v180
	v_fmamk_f32 v184, v53, 0x3f6f5d39, v181
	v_mul_f32_e32 v185, 0xbf788fa5, v70
	v_add_f32_e32 v67, v182, v66
	v_add_f32_e32 v66, v183, v172
	v_mul_f32_e32 v183, 0xbf3f9e67, v113
	v_add_f32_e32 v180, v184, v180
	v_fmamk_f32 v182, v54, 0x3e750f2a, v185
	v_mul_f32_e32 v172, 0xbf52af12, v127
	v_mul_f32_e32 v188, 0x3df6dbef, v124
	;; [unrolled: 1-line block ×4, first 2 shown]
	v_add_f32_e32 v180, v182, v180
	v_fmamk_f32 v182, v52, 0xbf29c268, v183
	v_fmamk_f32 v186, v57, 0x3f116cb1, v172
	;; [unrolled: 1-line block ×3, first 2 shown]
	v_mul_f32_e32 v190, 0xbe750f2a, v132
	v_fmamk_f32 v191, v63, 0xbf3f9e67, v184
	v_add_f32_e32 v180, v182, v180
	v_fmamk_f32 v182, v55, 0xbf7e222b, v188
	v_add_f32_e32 v186, v0, v186
	v_mul_f32_e32 v192, 0x3f29c268, v135
	v_mul_f32_e32 v194, 0x3f116cb1, v69
	v_add_f32_e32 v3, v3, v1
	v_add_f32_e32 v180, v182, v180
	v_mul_f32_e32 v182, 0x3f62ad3f, v68
	v_add_f32_e32 v186, v189, v186
	v_fmamk_f32 v189, v59, 0xbf788fa5, v190
	v_add_f32_e32 v2, v2, v0
	v_add_f32_e32 v66, v191, v66
	v_fmamk_f32 v193, v56, 0x3eedf032, v182
	v_mul_f32_e32 v191, 0x3f62ad3f, v136
	v_add_f32_e32 v68, v189, v186
	v_fmamk_f32 v186, v61, 0xbf3f9e67, v192
	v_mul_f32_e32 v189, 0x3f7e222b, v139
	;; [unrolled: 3-line block ×3, first 2 shown]
	v_add_f32_e32 v3, v5, v3
	v_add_f32_e32 v2, v4, v2
	;; [unrolled: 1-line block ×3, first 2 shown]
	v_fmamk_f32 v69, v62, 0x3df6dbef, v189
	v_fmamk_f32 v196, v60, 0xbeedf032, v191
	v_add_f32_e32 v193, v195, v193
	v_fmamk_f32 v195, v54, 0x3f7e222b, v70
	v_mul_f32_e32 v113, 0xbeb58ec6, v113
	v_add_f32_e32 v3, v7, v3
	v_add_f32_e32 v2, v6, v2
	;; [unrolled: 1-line block ×5, first 2 shown]
	v_fmamk_f32 v5, v52, 0x3f6f5d39, v113
	v_mul_f32_e32 v124, 0xbf3f9e67, v124
	v_mul_f32_e32 v127, 0xbeedf032, v127
	v_add_f32_e32 v3, v13, v3
	v_add_f32_e32 v2, v12, v2
	;; [unrolled: 1-line block ×3, first 2 shown]
	v_fmamk_f32 v5, v55, 0x3f29c268, v124
	v_fmamk_f32 v7, v57, 0x3f62ad3f, v127
	v_mul_f32_e32 v130, 0xbf52af12, v130
	v_add_f32_e32 v3, v15, v3
	v_add_f32_e32 v2, v14, v2
	;; [unrolled: 1-line block ×4, first 2 shown]
	v_fmamk_f32 v6, v58, 0x3f116cb1, v130
	v_mul_f32_e32 v12, 0xbf7e222b, v132
	v_add_f32_e32 v3, v45, v3
	v_add_f32_e32 v2, v44, v2
	v_mul_f32_e32 v15, 0xbf788fa5, v136
	v_add_f32_e32 v5, v6, v5
	v_fmamk_f32 v6, v59, 0x3df6dbef, v12
	v_mul_f32_e32 v14, 0xbf6f5d39, v135
	v_add_f32_e32 v3, v47, v3
	v_add_f32_e32 v2, v46, v2
	v_fmamk_f32 v7, v60, 0x3e750f2a, v15
	v_add_f32_e32 v5, v6, v5
	v_fmamk_f32 v6, v61, 0xbeb58ec6, v14
	v_add_f32_e32 v13, v17, v3
	v_mul_f32_e32 v17, 0xbf29c268, v139
	v_add_f32_e32 v2, v16, v2
	v_fmac_f32_e32 v71, 0xbe750f2a, v56
	v_add_f32_e32 v3, v7, v4
	v_add_f32_e32 v4, v6, v5
	v_fmamk_f32 v6, v62, 0xbf3f9e67, v17
	v_mul_f32_e32 v16, 0xbe750f2a, v143
	v_add_f32_e32 v2, v18, v2
	v_add_f32_e32 v7, v1, v71
	v_fmac_f32_e32 v114, 0x3eedf032, v53
	v_add_f32_e32 v4, v6, v4
	v_fmamk_f32 v6, v63, 0xbf788fa5, v16
	v_add_f32_e32 v8, v8, v2
	v_fmac_f32_e32 v126, 0xbf29c268, v54
	v_add_f32_e32 v7, v114, v7
	v_add_f32_e32 v5, v19, v13
	;; [unrolled: 1-line block ×3, first 2 shown]
	v_fma_f32 v4, 0xbf788fa5, v57, -v129
	v_add_f32_e32 v6, v10, v8
	v_add_f32_e32 v7, v126, v7
	v_fmac_f32_e32 v128, 0x3f52af12, v52
	v_add_f32_e32 v5, v9, v5
	v_add_f32_e32 v8, v0, v4
	v_fma_f32 v9, 0x3f62ad3f, v58, -v131
	v_add_f32_e32 v4, v99, v6
	v_add_f32_e32 v6, v128, v7
	v_fmac_f32_e32 v133, 0xbf6f5d39, v55
	v_fmac_f32_e32 v138, 0x3f7e222b, v60
	v_add_f32_e32 v7, v9, v8
	v_fma_f32 v8, 0xbf3f9e67, v59, -v134
	v_fma_f32 v10, 0x3f116cb1, v61, -v137
	v_add_f32_e32 v6, v133, v6
	v_add_f32_e32 v5, v11, v5
	v_fma_f32 v11, 0x3df6dbef, v58, -v148
	v_add_f32_e32 v8, v8, v7
	v_fma_f32 v13, 0x3f116cb1, v59, -v150
	;; [unrolled: 2-line block ×3, first 2 shown]
	v_fmac_f32_e32 v153, 0xbf6f5d39, v56
	v_add_f32_e32 v8, v10, v8
	v_fma_f32 v10, 0xbeb58ec6, v62, -v140
	v_fmac_f32_e32 v155, 0x3f29c268, v53
	v_add_f32_e32 v6, v0, v6
	v_add_f32_e32 v18, v1, v153
	v_fmac_f32_e32 v165, 0xbf7e222b, v56
	v_add_f32_e32 v8, v10, v8
	v_fma_f32 v10, 0x3df6dbef, v63, -v145
	v_add_f32_e32 v11, v11, v6
	v_fmac_f32_e32 v168, 0xbe750f2a, v53
	v_add_f32_e32 v19, v1, v165
	v_fmac_f32_e32 v169, 0x3f6f5d39, v54
	v_add_f32_e32 v6, v10, v8
	v_add_f32_e32 v8, v13, v11
	v_fma_f32 v10, 0xbf788fa5, v61, -v151
	v_fma_f32 v13, 0xbeb58ec6, v57, -v158
	v_add_f32_e32 v11, v155, v18
	v_fma_f32 v18, 0xbeb58ec6, v63, -v157
	v_fma_f32 v44, 0xbf788fa5, v58, -v174
	v_add_f32_e32 v8, v10, v8
	v_fma_f32 v10, 0x3f62ad3f, v62, -v154
	v_fmac_f32_e32 v167, 0x3eedf032, v52
	v_fmac_f32_e32 v175, 0xbf52af12, v55
	v_fma_f32 v45, 0x3f116cb1, v63, -v170
	v_fmac_f32_e32 v179, 0xbf29c268, v60
	v_add_f32_e32 v8, v10, v8
	v_add_f32_e32 v10, v0, v13
	v_fma_f32 v13, 0xbf3f9e67, v58, -v160
	v_fma_f32 v46, 0x3f116cb1, v62, -v173
	v_fmac_f32_e32 v141, 0xbf29c268, v56
	v_add_f32_e32 v8, v18, v8
	v_add_f32_e32 v18, v168, v19
	;; [unrolled: 1-line block ×3, first 2 shown]
	v_fma_f32 v13, 0x3f62ad3f, v59, -v163
	v_fma_f32 v19, 0xbf788fa5, v62, -v166
	v_fmac_f32_e32 v178, 0xbf52af12, v56
	v_add_f32_e32 v18, v169, v18
	v_fmac_f32_e32 v182, 0xbeedf032, v56
	v_add_f32_e32 v10, v13, v10
	v_fma_f32 v13, 0x3df6dbef, v61, -v162
	v_add_f32_e32 v9, v1, v141
	v_add_f32_e32 v18, v167, v18
	v_fmac_f32_e32 v142, 0x3f7e222b, v53
	v_fmac_f32_e32 v181, 0xbf6f5d39, v53
	v_add_f32_e32 v10, v13, v10
	v_fma_f32 v13, 0x3df6dbef, v57, -v171
	v_add_f32_e32 v18, v175, v18
	v_fma_f32 v47, 0xbeb58ec6, v58, -v187
	v_fmac_f32_e32 v194, 0xbf52af12, v53
	v_add_f32_e32 v10, v19, v10
	v_add_f32_e32 v13, v0, v13
	;; [unrolled: 1-line block ×7, first 2 shown]
	v_fma_f32 v44, 0xbeb58ec6, v59, -v177
	v_fma_f32 v45, 0x3f116cb1, v57, -v172
	v_fmac_f32_e32 v144, 0xbf52af12, v54
	v_fmac_f32_e32 v156, 0x3eedf032, v54
	v_add_f32_e32 v19, v181, v19
	v_add_f32_e32 v13, v44, v13
	v_fma_f32 v44, 0x3f62ad3f, v61, -v176
	v_add_f32_e32 v45, v0, v45
	v_fmac_f32_e32 v185, 0xbe750f2a, v54
	v_add_f32_e32 v1, v194, v1
	v_fmac_f32_e32 v70, 0xbf7e222b, v54
	v_add_f32_e32 v44, v44, v13
	v_add_f32_e32 v13, v179, v18
	;; [unrolled: 1-line block ×3, first 2 shown]
	v_fma_f32 v47, 0xbf788fa5, v59, -v190
	v_fma_f32 v12, 0x3df6dbef, v59, -v12
	v_add_f32_e32 v18, v46, v44
	v_fma_f32 v46, 0x3f62ad3f, v57, -v127
	v_add_f32_e32 v9, v144, v9
	v_fmac_f32_e32 v147, 0x3e750f2a, v52
	v_add_f32_e32 v11, v156, v11
	v_fmac_f32_e32 v159, 0xbf7e222b, v52
	v_add_f32_e32 v0, v0, v46
	v_fma_f32 v46, 0x3f116cb1, v58, -v130
	v_add_f32_e32 v19, v185, v19
	v_fmac_f32_e32 v183, 0x3f29c268, v52
	v_add_f32_e32 v45, v47, v45
	v_add_f32_e32 v1, v70, v1
	;; [unrolled: 1-line block ×3, first 2 shown]
	v_fma_f32 v46, 0xbf3f9e67, v61, -v192
	v_fmac_f32_e32 v113, 0xbf6f5d39, v52
	v_mul_f32_e32 v186, 0x3eedf032, v143
	v_add_f32_e32 v9, v147, v9
	v_add_f32_e32 v0, v12, v0
	v_fma_f32 v12, 0xbeb58ec6, v61, -v14
	v_fmac_f32_e32 v149, 0x3eedf032, v55
	v_add_f32_e32 v11, v159, v11
	v_fmac_f32_e32 v161, 0x3e750f2a, v55
	v_add_f32_e32 v19, v183, v19
	;; [unrolled: 2-line block ×3, first 2 shown]
	v_fma_f32 v45, 0x3df6dbef, v62, -v189
	v_add_f32_e32 v1, v113, v1
	v_fmac_f32_e32 v124, 0xbf29c268, v55
	v_add_f32_e32 v0, v12, v0
	v_fma_f32 v12, 0xbf3f9e67, v62, -v17
	v_fmamk_f32 v197, v63, 0x3f62ad3f, v186
	v_add_f32_e32 v9, v149, v9
	v_fmac_f32_e32 v152, 0xbf6f5d39, v60
	v_add_f32_e32 v11, v161, v11
	v_fmac_f32_e32 v164, 0x3f52af12, v60
	v_add_f32_e32 v5, v100, v5
	v_fma_f32 v44, 0xbf3f9e67, v63, -v184
	v_add_f32_e32 v19, v188, v19
	v_fmac_f32_e32 v191, 0x3eedf032, v60
	v_add_f32_e32 v14, v45, v14
	v_fma_f32 v17, 0x3f62ad3f, v63, -v186
	;; [unrolled: 4-line block ×3, first 2 shown]
	v_add_f32_e32 v68, v197, v68
	v_add_f32_e32 v9, v152, v9
	;; [unrolled: 1-line block ×8, first 2 shown]
	ds_write2_b64 v115, v[4:5], v[2:3] offset0:169 offset1:170
	ds_write2_b64 v115, v[68:69], v[66:67] offset0:171 offset1:172
	ds_write2_b64 v115, v[64:65], v[50:51] offset0:173 offset1:174
	ds_write2_b64 v115, v[48:49], v[6:7] offset0:175 offset1:176
	ds_write2_b64 v115, v[8:9], v[10:11] offset0:177 offset1:178
	ds_write2_b64 v115, v[12:13], v[0:1] offset0:179 offset1:180
	ds_write_b64 v115, v[14:15] offset:1448
.LBB0_13:
	s_or_b32 exec_lo, exec_lo, s0
	s_waitcnt lgkmcnt(0)
	s_barrier
	buffer_gl0_inv
	ds_read2_b64 v[0:3], v118 offset0:78 offset1:91
	ds_read2_b64 v[4:7], v118 offset0:104 offset1:117
	;; [unrolled: 1-line block ×3, first 2 shown]
	ds_read2_b64 v[12:15], v118 offset1:13
	ds_read2_b64 v[16:19], v118 offset0:26 offset1:39
	ds_read2_b64 v[44:47], v118 offset0:156 offset1:169
	;; [unrolled: 1-line block ×3, first 2 shown]
	s_waitcnt lgkmcnt(0)
	s_barrier
	buffer_gl0_inv
	s_mov_b32 s4, 0x16816817
	s_mov_b32 s5, 0x3f768168
	s_mul_hi_u32 s1, s8, 0x70
	v_mul_f32_e32 v52, v102, v3
	v_mul_f32_e32 v53, v102, v2
	;; [unrolled: 1-line block ×8, first 2 shown]
	v_fmac_f32_e32 v52, v101, v2
	v_fma_f32 v3, v101, v3, -v53
	v_mul_f32_e32 v2, v108, v10
	v_mul_f32_e32 v60, v108, v11
	v_fmac_f32_e32 v54, v101, v4
	v_fma_f32 v5, v101, v5, -v55
	v_fmac_f32_e32 v56, v109, v6
	v_fma_f32 v53, v109, v7, -v57
	v_fma_f32 v55, v111, v9, -v59
	v_mul_f32_e32 v4, v106, v44
	v_mul_f32_e32 v59, v104, v47
	;; [unrolled: 1-line block ×4, first 2 shown]
	v_fmac_f32_e32 v58, v111, v8
	v_fma_f32 v61, v107, v11, -v2
	v_sub_f32_e32 v2, v12, v52
	v_sub_f32_e32 v3, v13, v3
	v_fmac_f32_e32 v60, v107, v10
	v_fma_f32 v45, v105, v45, -v4
	v_fmac_f32_e32 v59, v103, v46
	v_sub_f32_e32 v4, v14, v54
	v_fma_f32 v54, v103, v47, -v6
	v_sub_f32_e32 v5, v15, v5
	v_sub_f32_e32 v10, v16, v56
	;; [unrolled: 1-line block ×3, first 2 shown]
	v_fmac_f32_e32 v57, v105, v44
	v_fma_f32 v6, v12, 2.0, -v2
	v_fma_f32 v7, v13, 2.0, -v3
	v_sub_f32_e32 v12, v18, v58
	v_sub_f32_e32 v13, v19, v55
	v_fma_f32 v8, v14, 2.0, -v4
	v_fma_f32 v9, v15, 2.0, -v5
	;; [unrolled: 1-line block ×3, first 2 shown]
	v_sub_f32_e32 v16, v48, v60
	v_fma_f32 v15, v17, 2.0, -v11
	v_sub_f32_e32 v17, v49, v61
	v_sub_f32_e32 v52, v0, v59
	;; [unrolled: 1-line block ×5, first 2 shown]
	v_fma_f32 v18, v18, 2.0, -v12
	v_fma_f32 v19, v19, 2.0, -v13
	;; [unrolled: 1-line block ×8, first 2 shown]
	ds_write2_b64 v118, v[6:7], v[2:3] offset1:13
	ds_write2_b64 v118, v[8:9], v[4:5] offset0:26 offset1:39
	ds_write2_b64 v121, v[14:15], v[10:11] offset0:52 offset1:65
	;; [unrolled: 1-line block ×6, first 2 shown]
	s_waitcnt lgkmcnt(0)
	s_barrier
	buffer_gl0_inv
	ds_read2_b64 v[0:3], v118 offset0:26 offset1:39
	ds_read2_b64 v[4:7], v118 offset0:52 offset1:65
	;; [unrolled: 1-line block ×6, first 2 shown]
	ds_read2_b64 v[48:51], v118 offset1:13
	s_waitcnt lgkmcnt(6)
	v_mul_f32_e32 v52, v41, v1
	v_mul_f32_e32 v41, v41, v0
	s_waitcnt lgkmcnt(5)
	v_mul_f32_e32 v53, v43, v5
	v_mul_f32_e32 v43, v43, v4
	v_fmac_f32_e32 v52, v40, v0
	v_fma_f32 v0, v40, v1, -v41
	v_fmac_f32_e32 v53, v42, v4
	v_fma_f32 v1, v42, v5, -v43
	s_waitcnt lgkmcnt(4)
	v_mul_f32_e32 v4, v33, v9
	v_mul_f32_e32 v5, v33, v8
	s_waitcnt lgkmcnt(3)
	v_mul_f32_e32 v33, v35, v13
	v_mul_f32_e32 v35, v35, v12
	s_waitcnt lgkmcnt(2)
	v_mul_f32_e32 v40, v21, v17
	v_fmac_f32_e32 v4, v32, v8
	v_fma_f32 v5, v32, v9, -v5
	v_fmac_f32_e32 v33, v34, v12
	v_fma_f32 v8, v34, v13, -v35
	v_fmac_f32_e32 v40, v20, v16
	v_mul_f32_e32 v9, v21, v16
	s_waitcnt lgkmcnt(1)
	v_mul_f32_e32 v12, v23, v45
	v_mul_f32_e32 v13, v23, v44
	;; [unrolled: 1-line block ×4, first 2 shown]
	v_fma_f32 v9, v20, v17, -v9
	v_fmac_f32_e32 v12, v22, v44
	v_fma_f32 v13, v22, v45, -v13
	v_fmac_f32_e32 v16, v36, v2
	v_fma_f32 v17, v36, v3, -v21
	v_mul_f32_e32 v2, v39, v6
	v_mul_f32_e32 v21, v29, v11
	v_mul_f32_e32 v3, v29, v10
	v_mul_f32_e32 v22, v31, v15
	v_mul_f32_e32 v20, v39, v7
	v_fma_f32 v23, v38, v7, -v2
	v_fmac_f32_e32 v21, v28, v10
	v_fma_f32 v28, v28, v11, -v3
	v_fmac_f32_e32 v22, v30, v14
	v_mul_f32_e32 v2, v31, v14
	v_mul_f32_e32 v14, v25, v19
	;; [unrolled: 1-line block ×3, first 2 shown]
	v_fmac_f32_e32 v20, v38, v6
	v_mul_f32_e32 v6, v27, v46
	v_fma_f32 v15, v30, v15, -v2
	v_fmac_f32_e32 v14, v24, v18
	v_fma_f32 v18, v24, v19, -v3
	v_add_f32_e32 v2, v52, v12
	v_add_f32_e32 v3, v0, v13
	;; [unrolled: 1-line block ×4, first 2 shown]
	v_mul_f32_e32 v25, v27, v47
	v_fma_f32 v19, v26, v47, -v6
	v_sub_f32_e32 v6, v52, v12
	v_sub_f32_e32 v0, v0, v13
	;; [unrolled: 1-line block ×4, first 2 shown]
	v_add_f32_e32 v9, v4, v33
	v_add_f32_e32 v12, v5, v8
	v_sub_f32_e32 v4, v33, v4
	v_sub_f32_e32 v5, v8, v5
	v_add_f32_e32 v8, v7, v2
	v_add_f32_e32 v13, v10, v3
	v_fmac_f32_e32 v25, v26, v46
	v_sub_f32_e32 v24, v7, v2
	v_sub_f32_e32 v26, v10, v3
	;; [unrolled: 1-line block ×6, first 2 shown]
	v_add_f32_e32 v27, v4, v11
	v_add_f32_e32 v29, v5, v1
	v_sub_f32_e32 v30, v4, v11
	v_sub_f32_e32 v31, v5, v1
	v_add_f32_e32 v8, v9, v8
	v_add_f32_e32 v9, v12, v13
	v_sub_f32_e32 v4, v6, v4
	v_sub_f32_e32 v5, v0, v5
	v_sub_f32_e32 v11, v11, v6
	v_sub_f32_e32 v12, v1, v0
	v_add_f32_e32 v6, v27, v6
	v_add_f32_e32 v13, v29, v0
	s_waitcnt lgkmcnt(0)
	v_add_f32_e32 v0, v48, v8
	v_add_f32_e32 v1, v49, v9
	v_mul_f32_e32 v2, 0x3f4a47b2, v2
	v_mul_f32_e32 v3, 0x3f4a47b2, v3
	;; [unrolled: 1-line block ×8, first 2 shown]
	v_fmamk_f32 v8, v8, 0xbf955555, v0
	v_fmamk_f32 v9, v9, 0xbf955555, v1
	;; [unrolled: 1-line block ×4, first 2 shown]
	v_fma_f32 v27, 0x3f3bfb3b, v24, -v27
	v_fma_f32 v29, 0x3f3bfb3b, v26, -v29
	;; [unrolled: 1-line block ×4, first 2 shown]
	v_fmamk_f32 v24, v4, 0xbeae86e6, v30
	v_fmamk_f32 v26, v5, 0xbeae86e6, v31
	v_fma_f32 v12, 0xbf5ff5aa, v12, -v31
	v_fma_f32 v11, 0xbf5ff5aa, v11, -v30
	;; [unrolled: 1-line block ×4, first 2 shown]
	v_add_f32_e32 v32, v7, v8
	v_add_f32_e32 v33, v10, v9
	;; [unrolled: 1-line block ×3, first 2 shown]
	v_fmac_f32_e32 v24, 0xbee1c552, v6
	v_fmac_f32_e32 v26, 0xbee1c552, v13
	;; [unrolled: 1-line block ×3, first 2 shown]
	v_add_f32_e32 v27, v29, v9
	v_add_f32_e32 v29, v2, v8
	;; [unrolled: 1-line block ×3, first 2 shown]
	v_fmac_f32_e32 v11, 0xbee1c552, v6
	v_fmac_f32_e32 v31, 0xbee1c552, v13
	;; [unrolled: 1-line block ×3, first 2 shown]
	v_add_f32_e32 v2, v26, v32
	v_sub_f32_e32 v3, v33, v24
	v_sub_f32_e32 v6, v10, v12
	v_add_f32_e32 v8, v12, v10
	v_sub_f32_e32 v12, v32, v26
	v_add_f32_e32 v13, v24, v33
	v_add_f32_e32 v24, v16, v25
	;; [unrolled: 1-line block ×3, first 2 shown]
	v_sub_f32_e32 v16, v16, v25
	v_sub_f32_e32 v17, v17, v19
	v_add_f32_e32 v19, v20, v14
	v_add_f32_e32 v25, v23, v18
	;; [unrolled: 1-line block ×3, first 2 shown]
	v_sub_f32_e32 v9, v27, v11
	v_sub_f32_e32 v14, v20, v14
	;; [unrolled: 1-line block ×3, first 2 shown]
	v_add_f32_e32 v20, v21, v22
	v_add_f32_e32 v23, v28, v15
	v_sub_f32_e32 v21, v22, v21
	v_sub_f32_e32 v15, v15, v28
	v_add_f32_e32 v22, v19, v24
	v_add_f32_e32 v27, v25, v26
	;; [unrolled: 1-line block ×3, first 2 shown]
	v_sub_f32_e32 v5, v34, v30
	v_sub_f32_e32 v10, v29, v31
	v_add_f32_e32 v11, v30, v34
	v_sub_f32_e32 v28, v19, v24
	v_sub_f32_e32 v29, v25, v26
	;; [unrolled: 1-line block ×6, first 2 shown]
	v_add_f32_e32 v30, v21, v14
	v_add_f32_e32 v31, v15, v18
	v_sub_f32_e32 v32, v21, v14
	v_sub_f32_e32 v33, v15, v18
	;; [unrolled: 1-line block ×3, first 2 shown]
	v_add_f32_e32 v20, v20, v22
	v_add_f32_e32 v22, v23, v27
	v_sub_f32_e32 v18, v18, v17
	v_sub_f32_e32 v21, v16, v21
	;; [unrolled: 1-line block ×3, first 2 shown]
	v_add_f32_e32 v16, v30, v16
	v_add_f32_e32 v17, v31, v17
	;; [unrolled: 1-line block ×4, first 2 shown]
	v_mul_f32_e32 v23, 0x3f4a47b2, v24
	v_mul_f32_e32 v24, 0x3f4a47b2, v26
	;; [unrolled: 1-line block ×8, first 2 shown]
	v_fmamk_f32 v20, v20, 0xbf955555, v14
	v_fmamk_f32 v22, v22, 0xbf955555, v15
	;; [unrolled: 1-line block ×4, first 2 shown]
	v_fma_f32 v26, 0x3f3bfb3b, v28, -v26
	v_fma_f32 v27, 0x3f3bfb3b, v29, -v27
	;; [unrolled: 1-line block ×4, first 2 shown]
	v_fmamk_f32 v28, v21, 0xbeae86e6, v30
	v_fmamk_f32 v29, v34, 0xbeae86e6, v31
	v_fma_f32 v32, 0x3eae86e6, v21, -v32
	v_fma_f32 v33, 0x3eae86e6, v34, -v33
	;; [unrolled: 1-line block ×4, first 2 shown]
	v_add_f32_e32 v34, v19, v20
	v_add_f32_e32 v35, v25, v22
	;; [unrolled: 1-line block ×6, first 2 shown]
	v_fmac_f32_e32 v28, 0xbee1c552, v16
	v_fmac_f32_e32 v29, 0xbee1c552, v17
	;; [unrolled: 1-line block ×6, first 2 shown]
	v_add_f32_e32 v16, v29, v34
	v_sub_f32_e32 v17, v35, v28
	v_add_f32_e32 v18, v33, v27
	v_sub_f32_e32 v19, v36, v32
	v_sub_f32_e32 v20, v25, v31
	v_add_f32_e32 v21, v30, v26
	v_add_f32_e32 v22, v31, v25
	v_sub_f32_e32 v23, v26, v30
	v_sub_f32_e32 v24, v27, v33
	v_add_f32_e32 v25, v32, v36
	v_sub_f32_e32 v26, v34, v29
	v_add_f32_e32 v27, v28, v35
	ds_write2_b64 v118, v[2:3], v[4:5] offset0:26 offset1:52
	ds_write2_b64 v118, v[6:7], v[8:9] offset0:78 offset1:104
	;; [unrolled: 1-line block ×3, first 2 shown]
	ds_write2_b64 v118, v[0:1], v[14:15] offset1:13
	ds_write2_b64 v125, v[16:17], v[18:19] offset0:26 offset1:52
	ds_write2_b64 v125, v[20:21], v[22:23] offset0:78 offset1:104
	;; [unrolled: 1-line block ×3, first 2 shown]
	s_waitcnt lgkmcnt(0)
	s_barrier
	buffer_gl0_inv
	ds_read2_b64 v[0:3], v118 offset1:14
	v_mad_u64_u32 v[10:11], null, s10, v82, 0
	v_mad_u64_u32 v[14:15], null, s8, v117, 0
	s_waitcnt lgkmcnt(0)
	v_mul_f32_e32 v4, v98, v1
	v_mul_f32_e32 v5, v98, v0
	v_mul_f32_e32 v12, v96, v3
	v_fmac_f32_e32 v4, v97, v0
	v_fma_f32 v8, v97, v1, -v5
	v_fmac_f32_e32 v12, v95, v2
	v_mul_f32_e32 v2, v96, v2
	v_cvt_f64_f32_e32 v[0:1], v4
	ds_read2_b64 v[4:7], v118 offset0:28 offset1:42
	v_cvt_f64_f32_e32 v[8:9], v8
	v_cvt_f64_f32_e32 v[12:13], v12
	v_fma_f32 v3, v95, v3, -v2
	v_mov_b32_e32 v2, v11
	v_cvt_f64_f32_e32 v[16:17], v3
	v_mov_b32_e32 v3, v15
	v_mad_u64_u32 v[18:19], null, s11, v82, v[2:3]
	s_waitcnt lgkmcnt(0)
	v_mul_f32_e32 v20, v94, v5
	v_mul_f64 v[0:1], v[0:1], s[4:5]
	v_mov_b32_e32 v11, v18
	v_mul_f64 v[8:9], v[8:9], s[4:5]
	v_mul_f64 v[12:13], v[12:13], s[4:5]
	v_fmac_f32_e32 v20, v93, v4
	v_mul_f32_e32 v4, v94, v4
	v_mul_f32_e32 v25, v92, v7
	;; [unrolled: 1-line block ×3, first 2 shown]
	v_cvt_f64_f32_e32 v[19:20], v20
	v_mad_u64_u32 v[2:3], null, s9, v117, v[3:4]
	v_fma_f32 v3, v93, v5, -v4
	v_fmac_f32_e32 v25, v91, v6
	v_cvt_f64_f32_e32 v[21:22], v3
	v_mov_b32_e32 v15, v2
	ds_read2_b64 v[2:5], v118 offset0:56 offset1:70
	v_cvt_f32_f64_e32 v23, v[0:1]
	v_lshlrev_b64 v[0:1], 3, v[10:11]
	v_cvt_f32_f64_e32 v24, v[8:9]
	v_lshlrev_b64 v[8:9], 3, v[14:15]
	v_mul_f64 v[14:15], v[16:17], s[4:5]
	v_cvt_f32_f64_e32 v12, v[12:13]
	v_fma_f32 v13, v91, v7, -v26
	v_add_co_u32 v0, s0, s2, v0
	v_add_co_ci_u32_e64 v1, s0, s3, v1, s0
	v_mul_f64 v[16:17], v[19:20], s[4:5]
	v_add_co_u32 v18, s0, v0, v8
	v_add_co_ci_u32_e64 v19, s0, v1, v9, s0
	ds_read2_b64 v[8:11], v118 offset0:84 offset1:98
	v_mul_f64 v[20:21], v[21:22], s[4:5]
	v_cvt_f64_f32_e32 v[6:7], v25
	v_cvt_f64_f32_e32 v[25:26], v13
	s_waitcnt lgkmcnt(1)
	v_mul_f32_e32 v22, v90, v3
	v_mul_f32_e32 v27, v90, v2
	s_mul_i32 s0, s9, 0x70
	s_mul_i32 s2, s8, 0x70
	s_add_i32 s1, s1, s0
	v_fmac_f32_e32 v22, v89, v2
	v_fma_f32 v3, v89, v3, -v27
	v_mul_f32_e32 v27, v88, v5
	v_cvt_f32_f64_e32 v13, v[14:15]
	v_cvt_f64_f32_e32 v[14:15], v22
	v_mul_f32_e32 v22, v88, v4
	v_fmac_f32_e32 v27, v87, v4
	v_cvt_f32_f64_e32 v2, v[16:17]
	v_cvt_f64_f32_e32 v[16:17], v3
	s_waitcnt lgkmcnt(0)
	v_mul_f32_e32 v28, v86, v9
	v_mul_f32_e32 v29, v86, v8
	v_fma_f32 v22, v87, v5, -v22
	v_cvt_f32_f64_e32 v3, v[20:21]
	v_cvt_f64_f32_e32 v[4:5], v27
	v_fmac_f32_e32 v28, v85, v8
	v_fma_f32 v27, v85, v9, -v29
	v_mul_f64 v[20:21], v[25:26], s[4:5]
	v_add_co_u32 v29, s0, v18, s2
	v_cvt_f64_f32_e32 v[25:26], v28
	v_cvt_f64_f32_e32 v[27:28], v27
	v_add_co_ci_u32_e64 v30, s0, s1, v19, s0
	v_add_co_u32 v31, s0, v29, s2
	v_cvt_f64_f32_e32 v[8:9], v22
	v_add_co_ci_u32_e64 v32, s0, s1, v30, s0
	global_store_dwordx2 v[18:19], v[23:24], off
	global_store_dwordx2 v[29:30], v[12:13], off
	;; [unrolled: 1-line block ×3, first 2 shown]
	v_mul_f32_e32 v2, v84, v11
	v_mul_f64 v[6:7], v[6:7], s[4:5]
	v_mul_f32_e32 v3, v84, v10
	v_mul_f64 v[12:13], v[4:5], s[4:5]
	v_mul_f64 v[14:15], v[14:15], s[4:5]
	v_fmac_f32_e32 v2, v83, v10
	v_cvt_f32_f64_e32 v23, v[20:21]
	v_fma_f32 v3, v83, v11, -v3
	v_mul_f64 v[10:11], v[25:26], s[4:5]
	v_mul_f64 v[20:21], v[27:28], s[4:5]
	v_cvt_f64_f32_e32 v[24:25], v2
	v_mul_f64 v[16:17], v[16:17], s[4:5]
	v_cvt_f64_f32_e32 v[26:27], v3
	ds_read2_b64 v[2:5], v118 offset0:112 offset1:126
	v_mul_f64 v[18:19], v[8:9], s[4:5]
	v_add_co_u32 v28, s0, v31, s2
	v_add_co_ci_u32_e64 v29, s0, s1, v32, s0
	v_cvt_f32_f64_e32 v22, v[6:7]
	ds_read2_b64 v[6:9], v118 offset0:140 offset1:154
	v_cvt_f32_f64_e32 v12, v[12:13]
	v_cvt_f32_f64_e32 v14, v[14:15]
	;; [unrolled: 1-line block ×4, first 2 shown]
	v_mul_f64 v[20:21], v[24:25], s[4:5]
	ds_read_b64 v[24:25], v118 offset:1344
	s_waitcnt lgkmcnt(2)
	v_mul_f32_e32 v30, v73, v3
	v_mul_f32_e32 v31, v73, v2
	;; [unrolled: 1-line block ×4, first 2 shown]
	v_mul_f64 v[26:27], v[26:27], s[4:5]
	v_fmac_f32_e32 v30, v72, v2
	v_fma_f32 v31, v72, v3, -v31
	v_fmac_f32_e32 v32, v76, v4
	v_fma_f32 v34, v76, v5, -v33
	v_cvt_f32_f64_e32 v15, v[16:17]
	s_waitcnt lgkmcnt(1)
	v_mul_f32_e32 v36, v75, v7
	v_mul_f32_e32 v38, v79, v9
	;; [unrolled: 1-line block ×3, first 2 shown]
	v_cvt_f64_f32_e32 v[2:3], v30
	v_cvt_f64_f32_e32 v[30:31], v31
	v_fmac_f32_e32 v36, v74, v6
	v_mul_f32_e32 v6, v75, v6
	v_fmac_f32_e32 v38, v78, v8
	v_fma_f32 v39, v78, v9, -v39
	s_waitcnt lgkmcnt(0)
	v_mul_f32_e32 v40, v81, v25
	v_mul_f32_e32 v41, v81, v24
	v_fma_f32 v6, v74, v7, -v6
	v_cvt_f64_f32_e32 v[32:33], v32
	v_cvt_f64_f32_e32 v[34:35], v34
	v_fmac_f32_e32 v40, v80, v24
	v_fma_f32 v41, v80, v25, -v41
	v_cvt_f64_f32_e32 v[36:37], v36
	v_cvt_f64_f32_e32 v[6:7], v6
	;; [unrolled: 1-line block ×6, first 2 shown]
	v_add_co_u32 v16, s0, v28, s2
	v_add_co_ci_u32_e64 v17, s0, s1, v29, s0
	v_cvt_f32_f64_e32 v13, v[18:19]
	v_add_co_u32 v18, s0, v16, s2
	v_add_co_ci_u32_e64 v19, s0, s1, v17, s0
	v_mad_u64_u32 v[4:5], null, s8, v116, 0
	v_add_co_u32 v42, s0, v18, s2
	v_add_co_ci_u32_e64 v43, s0, s1, v19, s0
	v_mul_f64 v[2:3], v[2:3], s[4:5]
	v_mul_f64 v[30:31], v[30:31], s[4:5]
	v_cvt_f32_f64_e32 v20, v[20:21]
	v_cvt_f32_f64_e32 v21, v[26:27]
	v_add_co_u32 v26, s0, v42, s2
	v_add_co_ci_u32_e64 v27, s0, s1, v43, s0
	v_mul_f64 v[32:33], v[32:33], s[4:5]
	v_mul_f64 v[34:35], v[34:35], s[4:5]
	v_mad_u64_u32 v[44:45], null, s9, v116, v[5:6]
	v_mul_f64 v[36:37], v[36:37], s[4:5]
	v_mul_f64 v[6:7], v[6:7], s[4:5]
	;; [unrolled: 1-line block ×6, first 2 shown]
	v_mad_u64_u32 v[45:46], null, 0xe0, s8, v[26:27]
	global_store_dwordx2 v[28:29], v[22:23], off
	global_store_dwordx2 v[16:17], v[14:15], off
	global_store_dwordx2 v[18:19], v[12:13], off
	global_store_dwordx2 v[42:43], v[10:11], off
	v_cvt_f32_f64_e32 v2, v[2:3]
	v_cvt_f32_f64_e32 v3, v[30:31]
	v_mov_b32_e32 v5, v44
	global_store_dwordx2 v[26:27], v[20:21], off
	v_mov_b32_e32 v14, v46
	v_lshlrev_b64 v[4:5], 3, v[4:5]
	v_mad_u64_u32 v[10:11], null, 0xe0, s9, v[14:15]
	v_cvt_f32_f64_e32 v11, v[32:33]
	v_cvt_f32_f64_e32 v12, v[34:35]
	;; [unrolled: 1-line block ×8, first 2 shown]
	v_mov_b32_e32 v46, v10
	v_add_co_u32 v15, s0, v45, s2
	v_add_co_ci_u32_e64 v16, s0, s1, v46, s0
	v_add_co_u32 v4, s0, v0, v4
	v_add_co_ci_u32_e64 v5, s0, v1, v5, s0
	;; [unrolled: 2-line block ×3, first 2 shown]
	global_store_dwordx2 v[4:5], v[2:3], off
	v_add_co_u32 v2, s0, v17, s2
	v_add_co_ci_u32_e64 v3, s0, s1, v18, s0
	global_store_dwordx2 v[45:46], v[11:12], off
	global_store_dwordx2 v[15:16], v[13:14], off
	;; [unrolled: 1-line block ×4, first 2 shown]
	s_and_b32 exec_lo, exec_lo, vcc_lo
	s_cbranch_execz .LBB0_15
; %bb.14:
	ds_read2_b64 v[2:5], v115 offset0:13 offset1:27
	s_load_dwordx2 s[0:1], s[6:7], 0x68
	v_mad_u64_u32 v[8:9], null, 0x68, s8, v[0:1]
	s_waitcnt lgkmcnt(0)
	v_mul_f32_e32 v6, s1, v3
	v_mul_f32_e32 v7, s1, v2
	v_fmac_f32_e32 v6, s0, v2
	v_fma_f32 v7, s0, v3, -v7
	v_cvt_f64_f32_e32 v[2:3], v6
	v_cvt_f64_f32_e32 v[6:7], v7
	v_mul_f64 v[2:3], v[2:3], s[4:5]
	v_mul_f64 v[6:7], v[6:7], s[4:5]
	v_cvt_f32_f64_e32 v2, v[2:3]
	v_cvt_f32_f64_e32 v3, v[6:7]
	v_mov_b32_e32 v6, v9
	v_mad_u64_u32 v[6:7], null, 0x68, s9, v[6:7]
	v_mov_b32_e32 v9, v6
	v_mad_u64_u32 v[6:7], null, 0xd8, s8, v[0:1]
	global_store_dwordx2 v[8:9], v[2:3], off
	s_load_dwordx2 s[0:1], s[6:7], 0xd8
	s_waitcnt lgkmcnt(0)
	v_mul_f32_e32 v2, s1, v5
	v_mul_f32_e32 v3, s1, v4
	v_fmac_f32_e32 v2, s0, v4
	v_fma_f32 v4, s0, v5, -v3
	v_cvt_f64_f32_e32 v[2:3], v2
	v_cvt_f64_f32_e32 v[4:5], v4
	v_mul_f64 v[2:3], v[2:3], s[4:5]
	v_mul_f64 v[4:5], v[4:5], s[4:5]
	v_cvt_f32_f64_e32 v8, v[2:3]
	v_cvt_f32_f64_e32 v9, v[4:5]
	v_mov_b32_e32 v2, v7
	v_mad_u64_u32 v[2:3], null, 0xd8, s9, v[2:3]
	v_mov_b32_e32 v7, v2
	ds_read2_b64 v[2:5], v115 offset0:41 offset1:55
	global_store_dwordx2 v[6:7], v[8:9], off
	s_load_dwordx2 s[0:1], s[6:7], 0x148
	v_mad_u64_u32 v[8:9], null, 0x148, s8, v[0:1]
	s_waitcnt lgkmcnt(0)
	v_mul_f32_e32 v6, s1, v3
	v_mul_f32_e32 v7, s1, v2
	v_fmac_f32_e32 v6, s0, v2
	v_fma_f32 v7, s0, v3, -v7
	v_cvt_f64_f32_e32 v[2:3], v6
	v_cvt_f64_f32_e32 v[6:7], v7
	v_mul_f64 v[2:3], v[2:3], s[4:5]
	v_mul_f64 v[6:7], v[6:7], s[4:5]
	v_cvt_f32_f64_e32 v2, v[2:3]
	v_cvt_f32_f64_e32 v3, v[6:7]
	v_mov_b32_e32 v6, v9
	v_mad_u64_u32 v[6:7], null, 0x148, s9, v[6:7]
	v_mov_b32_e32 v9, v6
	v_mad_u64_u32 v[6:7], null, 0x1b8, s8, v[0:1]
	global_store_dwordx2 v[8:9], v[2:3], off
	s_load_dwordx2 s[0:1], s[6:7], 0x1b8
	s_waitcnt lgkmcnt(0)
	v_mul_f32_e32 v2, s1, v5
	v_mul_f32_e32 v3, s1, v4
	v_fmac_f32_e32 v2, s0, v4
	v_fma_f32 v4, s0, v5, -v3
	v_cvt_f64_f32_e32 v[2:3], v2
	v_cvt_f64_f32_e32 v[4:5], v4
	v_mul_f64 v[2:3], v[2:3], s[4:5]
	v_mul_f64 v[4:5], v[4:5], s[4:5]
	v_cvt_f32_f64_e32 v8, v[2:3]
	v_cvt_f32_f64_e32 v9, v[4:5]
	v_mov_b32_e32 v2, v7
	v_mad_u64_u32 v[2:3], null, 0x1b8, s9, v[2:3]
	v_mov_b32_e32 v7, v2
	ds_read2_b64 v[2:5], v115 offset0:69 offset1:83
	global_store_dwordx2 v[6:7], v[8:9], off
	;; [unrolled: 35-line block ×5, first 2 shown]
	s_load_dwordx2 s[0:1], s[6:7], 0x4c8
	v_mad_u64_u32 v[8:9], null, 0x4c8, s8, v[0:1]
	s_waitcnt lgkmcnt(0)
	v_mul_f32_e32 v6, s1, v3
	v_mul_f32_e32 v7, s1, v2
	v_fmac_f32_e32 v6, s0, v2
	v_fma_f32 v7, s0, v3, -v7
	v_cvt_f64_f32_e32 v[2:3], v6
	v_cvt_f64_f32_e32 v[6:7], v7
	v_mul_f64 v[2:3], v[2:3], s[4:5]
	v_mul_f64 v[6:7], v[6:7], s[4:5]
	v_cvt_f32_f64_e32 v2, v[2:3]
	v_cvt_f32_f64_e32 v3, v[6:7]
	v_mov_b32_e32 v6, v9
	v_mad_u64_u32 v[6:7], null, 0x4c8, s9, v[6:7]
	v_mov_b32_e32 v9, v6
	v_mad_u64_u32 v[6:7], null, 0x538, s8, v[0:1]
	v_mad_u64_u32 v[0:1], null, 0x5a8, s8, v[0:1]
	global_store_dwordx2 v[8:9], v[2:3], off
	s_load_dwordx2 s[0:1], s[6:7], 0x538
	s_waitcnt lgkmcnt(0)
	v_mul_f32_e32 v2, s1, v5
	v_mul_f32_e32 v3, s1, v4
	v_fmac_f32_e32 v2, s0, v4
	v_fma_f32 v4, s0, v5, -v3
	v_cvt_f64_f32_e32 v[2:3], v2
	v_cvt_f64_f32_e32 v[4:5], v4
	v_mul_f64 v[2:3], v[2:3], s[4:5]
	v_mul_f64 v[4:5], v[4:5], s[4:5]
	v_cvt_f32_f64_e32 v2, v[2:3]
	v_cvt_f32_f64_e32 v3, v[4:5]
	v_mov_b32_e32 v4, v7
	v_mad_u64_u32 v[4:5], null, 0x538, s9, v[4:5]
	v_mov_b32_e32 v7, v4
	ds_read_b64 v[4:5], v115 offset:1448
	global_store_dwordx2 v[6:7], v[2:3], off
	s_load_dwordx2 s[0:1], s[6:7], 0x5a8
	s_waitcnt lgkmcnt(0)
	v_mul_f32_e32 v2, s1, v5
	v_mul_f32_e32 v3, s1, v4
	v_fmac_f32_e32 v2, s0, v4
	v_fma_f32 v4, s0, v5, -v3
	v_cvt_f64_f32_e32 v[2:3], v2
	v_cvt_f64_f32_e32 v[4:5], v4
	v_mul_f64 v[2:3], v[2:3], s[4:5]
	v_mul_f64 v[4:5], v[4:5], s[4:5]
	v_cvt_f32_f64_e32 v2, v[2:3]
	v_cvt_f32_f64_e32 v3, v[4:5]
	v_mad_u64_u32 v[4:5], null, 0x5a8, s9, v[1:2]
	v_mov_b32_e32 v1, v4
	global_store_dwordx2 v[0:1], v[2:3], off
.LBB0_15:
	s_endpgm
	.section	.rodata,"a",@progbits
	.p2align	6, 0x0
	.amdhsa_kernel bluestein_single_fwd_len182_dim1_sp_op_CI_CI
		.amdhsa_group_segment_fixed_size 5824
		.amdhsa_private_segment_fixed_size 0
		.amdhsa_kernarg_size 104
		.amdhsa_user_sgpr_count 6
		.amdhsa_user_sgpr_private_segment_buffer 1
		.amdhsa_user_sgpr_dispatch_ptr 0
		.amdhsa_user_sgpr_queue_ptr 0
		.amdhsa_user_sgpr_kernarg_segment_ptr 1
		.amdhsa_user_sgpr_dispatch_id 0
		.amdhsa_user_sgpr_flat_scratch_init 0
		.amdhsa_user_sgpr_private_segment_size 0
		.amdhsa_wavefront_size32 1
		.amdhsa_uses_dynamic_stack 0
		.amdhsa_system_sgpr_private_segment_wavefront_offset 0
		.amdhsa_system_sgpr_workgroup_id_x 1
		.amdhsa_system_sgpr_workgroup_id_y 0
		.amdhsa_system_sgpr_workgroup_id_z 0
		.amdhsa_system_sgpr_workgroup_info 0
		.amdhsa_system_vgpr_workitem_id 0
		.amdhsa_next_free_vgpr 198
		.amdhsa_next_free_sgpr 40
		.amdhsa_reserve_vcc 1
		.amdhsa_reserve_flat_scratch 0
		.amdhsa_float_round_mode_32 0
		.amdhsa_float_round_mode_16_64 0
		.amdhsa_float_denorm_mode_32 3
		.amdhsa_float_denorm_mode_16_64 3
		.amdhsa_dx10_clamp 1
		.amdhsa_ieee_mode 1
		.amdhsa_fp16_overflow 0
		.amdhsa_workgroup_processor_mode 1
		.amdhsa_memory_ordered 1
		.amdhsa_forward_progress 0
		.amdhsa_shared_vgpr_count 0
		.amdhsa_exception_fp_ieee_invalid_op 0
		.amdhsa_exception_fp_denorm_src 0
		.amdhsa_exception_fp_ieee_div_zero 0
		.amdhsa_exception_fp_ieee_overflow 0
		.amdhsa_exception_fp_ieee_underflow 0
		.amdhsa_exception_fp_ieee_inexact 0
		.amdhsa_exception_int_div_zero 0
	.end_amdhsa_kernel
	.text
.Lfunc_end0:
	.size	bluestein_single_fwd_len182_dim1_sp_op_CI_CI, .Lfunc_end0-bluestein_single_fwd_len182_dim1_sp_op_CI_CI
                                        ; -- End function
	.section	.AMDGPU.csdata,"",@progbits
; Kernel info:
; codeLenInByte = 21280
; NumSgprs: 42
; NumVgprs: 198
; ScratchSize: 0
; MemoryBound: 0
; FloatMode: 240
; IeeeMode: 1
; LDSByteSize: 5824 bytes/workgroup (compile time only)
; SGPRBlocks: 5
; VGPRBlocks: 24
; NumSGPRsForWavesPerEU: 42
; NumVGPRsForWavesPerEU: 198
; Occupancy: 4
; WaveLimiterHint : 1
; COMPUTE_PGM_RSRC2:SCRATCH_EN: 0
; COMPUTE_PGM_RSRC2:USER_SGPR: 6
; COMPUTE_PGM_RSRC2:TRAP_HANDLER: 0
; COMPUTE_PGM_RSRC2:TGID_X_EN: 1
; COMPUTE_PGM_RSRC2:TGID_Y_EN: 0
; COMPUTE_PGM_RSRC2:TGID_Z_EN: 0
; COMPUTE_PGM_RSRC2:TIDIG_COMP_CNT: 0
	.text
	.p2alignl 6, 3214868480
	.fill 48, 4, 3214868480
	.type	__hip_cuid_59b2eaec780fbba2,@object ; @__hip_cuid_59b2eaec780fbba2
	.section	.bss,"aw",@nobits
	.globl	__hip_cuid_59b2eaec780fbba2
__hip_cuid_59b2eaec780fbba2:
	.byte	0                               ; 0x0
	.size	__hip_cuid_59b2eaec780fbba2, 1

	.ident	"AMD clang version 19.0.0git (https://github.com/RadeonOpenCompute/llvm-project roc-6.4.0 25133 c7fe45cf4b819c5991fe208aaa96edf142730f1d)"
	.section	".note.GNU-stack","",@progbits
	.addrsig
	.addrsig_sym __hip_cuid_59b2eaec780fbba2
	.amdgpu_metadata
---
amdhsa.kernels:
  - .args:
      - .actual_access:  read_only
        .address_space:  global
        .offset:         0
        .size:           8
        .value_kind:     global_buffer
      - .actual_access:  read_only
        .address_space:  global
        .offset:         8
        .size:           8
        .value_kind:     global_buffer
      - .actual_access:  read_only
        .address_space:  global
        .offset:         16
        .size:           8
        .value_kind:     global_buffer
      - .actual_access:  read_only
        .address_space:  global
        .offset:         24
        .size:           8
        .value_kind:     global_buffer
      - .actual_access:  read_only
        .address_space:  global
        .offset:         32
        .size:           8
        .value_kind:     global_buffer
      - .offset:         40
        .size:           8
        .value_kind:     by_value
      - .address_space:  global
        .offset:         48
        .size:           8
        .value_kind:     global_buffer
      - .address_space:  global
        .offset:         56
        .size:           8
        .value_kind:     global_buffer
      - .address_space:  global
        .offset:         64
        .size:           8
        .value_kind:     global_buffer
      - .address_space:  global
        .offset:         72
        .size:           8
        .value_kind:     global_buffer
      - .offset:         80
        .size:           4
        .value_kind:     by_value
      - .address_space:  global
        .offset:         88
        .size:           8
        .value_kind:     global_buffer
      - .address_space:  global
        .offset:         96
        .size:           8
        .value_kind:     global_buffer
    .group_segment_fixed_size: 5824
    .kernarg_segment_align: 8
    .kernarg_segment_size: 104
    .language:       OpenCL C
    .language_version:
      - 2
      - 0
    .max_flat_workgroup_size: 52
    .name:           bluestein_single_fwd_len182_dim1_sp_op_CI_CI
    .private_segment_fixed_size: 0
    .sgpr_count:     42
    .sgpr_spill_count: 0
    .symbol:         bluestein_single_fwd_len182_dim1_sp_op_CI_CI.kd
    .uniform_work_group_size: 1
    .uses_dynamic_stack: false
    .vgpr_count:     198
    .vgpr_spill_count: 0
    .wavefront_size: 32
    .workgroup_processor_mode: 1
amdhsa.target:   amdgcn-amd-amdhsa--gfx1030
amdhsa.version:
  - 1
  - 2
...

	.end_amdgpu_metadata
